;; amdgpu-corpus repo=zjin-lcf/HeCBench kind=compiled arch=gfx1250 opt=O3
	.amdgcn_target "amdgcn-amd-amdhsa--gfx1250"
	.amdhsa_code_object_version 6
	.text
	.protected	_Z6kernelPfS_iiiiiffi   ; -- Begin function _Z6kernelPfS_iiiiiffi
	.globl	_Z6kernelPfS_iiiiiffi
	.p2align	8
	.type	_Z6kernelPfS_iiiiiffi,@function
_Z6kernelPfS_iiiiiffi:                  ; @_Z6kernelPfS_iiiiiffi
; %bb.0:
	s_clause 0x1
	s_load_b32 s2, s[0:1], 0x3c
	s_load_b256 s[4:11], s[0:1], 0x10
	s_bfe_u32 s12, ttmp6, 0x4000c
	s_bfe_u32 s13, ttmp6, 0x40010
	s_add_co_i32 s12, s12, 1
	s_add_co_i32 s13, s13, 1
	s_and_b32 s3, ttmp6, 15
	s_bfe_u32 s14, ttmp6, 0x40004
	s_mul_i32 s12, ttmp9, s12
	s_mul_i32 s13, ttmp7, s13
	s_getreg_b32 s15, hwreg(HW_REG_IB_STS2, 6, 4)
	s_add_co_i32 s3, s3, s12
	s_add_co_i32 s14, s14, s13
	v_and_b32_e32 v1, 0x3ff, v0
	v_bfe_u32 v0, v0, 10, 10
	s_wait_kmcnt 0x0
	s_lshr_b32 s12, s2, 16
	s_and_b32 s2, s2, 0xffff
	s_cmp_eq_u32 s15, 0
	s_cselect_b32 s13, ttmp7, s14
	s_cselect_b32 s3, ttmp9, s3
	s_mul_i32 s13, s13, s12
	s_mul_i32 s3, s3, s2
	v_add3_u32 v0, s13, s4, v0
	v_add3_u32 v2, s3, s5, v1
	s_delay_alu instid0(VALU_DEP_2) | instskip(NEXT) | instid1(VALU_DEP_2)
	v_cmp_ge_i32_e32 vcc_lo, s6, v0
	v_cmp_ge_i32_e64 s2, s7, v2
	s_and_b32 s2, s2, vcc_lo
	s_delay_alu instid0(SALU_CYCLE_1)
	s_and_saveexec_b32 s3, s2
	s_cbranch_execz .LBB0_7
; %bb.1:
	v_add_nc_u32_e32 v0, -1, v0
	s_load_b128 s[0:3], s[0:1], 0x0
	s_delay_alu instid0(VALU_DEP_1) | instskip(NEXT) | instid1(VALU_DEP_1)
	v_mad_u32 v4, v0, s8, v2
	v_add_nc_u32_e32 v1, -1, v4
	s_delay_alu instid0(VALU_DEP_1)
	v_mul_lo_u32 v0, v1, 12
	s_wait_kmcnt 0x0
	global_load_b32 v3, v0, s[0:1] scale_offset
	s_wait_loadcnt 0x0
	v_cmp_neq_f32_e32 vcc_lo, 0, v3
	s_and_b32 exec_lo, exec_lo, vcc_lo
	s_cbranch_execz .LBB0_7
; %bb.2:
	v_subrev_nc_u32_e32 v1, s8, v1
	v_mad_u32 v11, v4, 12, 0xffffffec
	s_delay_alu instid0(VALU_DEP_2) | instskip(SKIP_1) | instid1(VALU_DEP_1)
	v_mul_lo_u32 v3, v1, 12
	v_ashrrev_i32_e32 v1, 31, v0
	v_lshl_add_u64 v[0:1], v[0:1], 2, s[0:1]
	s_clause 0x1
	global_load_b128 v[6:9], v[0:1], off offset:4
	global_load_b32 v10, v3, s[0:1] offset:12 scale_offset
	s_wait_xcnt 0x0
	v_ashrrev_i32_e32 v3, 31, v2
	s_delay_alu instid0(VALU_DEP_1)
	v_lshl_add_u64 v[2:3], v[2:3], 2, s[2:3]
	global_load_b32 v12, v[0:1], off offset:20
	global_load_b64 v[4:5], v[2:3], off offset:-4
	s_wait_loadcnt 0x2
	v_sub_f32_e32 v10, v8, v10
	global_load_b32 v8, v11, s[0:1] scale_offset
	s_wait_xcnt 0x0
	s_mov_b32 s0, exec_lo
	s_wait_loadcnt 0x0
	v_pk_mul_f32 v[2:3], v[8:9], v[4:5]
	s_delay_alu instid0(VALU_DEP_1) | instskip(NEXT) | instid1(VALU_DEP_1)
	v_add_f32_e32 v3, v10, v3
	v_sub_f32_e32 v2, v3, v2
	s_delay_alu instid0(VALU_DEP_1) | instskip(NEXT) | instid1(VALU_DEP_1)
	v_fma_f32 v2, -v12, v2, v6
	v_cmp_nlt_f32_e64 vcc_lo, |v2|, s9
	v_cndmask_b32_e32 v3, 0, v2, vcc_lo
	global_store_b32 v[0:1], v3, off offset:4
	s_wait_xcnt 0x0
	v_cmpx_gt_f32_e32 v3, v7
	s_cbranch_execz .LBB0_4
; %bb.3:
	global_store_b32 v[0:1], v3, off offset:8
.LBB0_4:
	s_wait_xcnt 0x0
	s_or_b32 exec_lo, exec_lo, s0
	s_cmp_eq_f32 s10, 0
	s_cbranch_scc1 .LBB0_7
; %bb.5:
	global_load_b32 v3, v[0:1], off offset:40
	v_cmp_gt_f32_e64 s0, |v2|, s10
	s_wait_loadcnt 0x0
	v_cmp_gt_f32_e32 vcc_lo, 0, v3
	s_and_b32 s0, s0, vcc_lo
	s_wait_xcnt 0x0
	s_and_b32 exec_lo, exec_lo, s0
	s_cbranch_execz .LBB0_7
; %bb.6:
	s_cvt_f32_i32 s0, s11
	s_delay_alu instid0(SALU_CYCLE_3)
	v_mov_b32_e32 v2, s0
	global_store_b32 v[0:1], v2, off offset:40
.LBB0_7:
	s_endpgm
	.section	.rodata,"a",@progbits
	.p2align	6, 0x0
	.amdhsa_kernel _Z6kernelPfS_iiiiiffi
		.amdhsa_group_segment_fixed_size 0
		.amdhsa_private_segment_fixed_size 0
		.amdhsa_kernarg_size 304
		.amdhsa_user_sgpr_count 2
		.amdhsa_user_sgpr_dispatch_ptr 0
		.amdhsa_user_sgpr_queue_ptr 0
		.amdhsa_user_sgpr_kernarg_segment_ptr 1
		.amdhsa_user_sgpr_dispatch_id 0
		.amdhsa_user_sgpr_kernarg_preload_length 0
		.amdhsa_user_sgpr_kernarg_preload_offset 0
		.amdhsa_user_sgpr_private_segment_size 0
		.amdhsa_wavefront_size32 1
		.amdhsa_uses_dynamic_stack 0
		.amdhsa_enable_private_segment 0
		.amdhsa_system_sgpr_workgroup_id_x 1
		.amdhsa_system_sgpr_workgroup_id_y 1
		.amdhsa_system_sgpr_workgroup_id_z 0
		.amdhsa_system_sgpr_workgroup_info 0
		.amdhsa_system_vgpr_workitem_id 1
		.amdhsa_next_free_vgpr 13
		.amdhsa_next_free_sgpr 16
		.amdhsa_named_barrier_count 0
		.amdhsa_reserve_vcc 1
		.amdhsa_float_round_mode_32 0
		.amdhsa_float_round_mode_16_64 0
		.amdhsa_float_denorm_mode_32 3
		.amdhsa_float_denorm_mode_16_64 3
		.amdhsa_fp16_overflow 0
		.amdhsa_memory_ordered 1
		.amdhsa_forward_progress 1
		.amdhsa_inst_pref_size 5
		.amdhsa_round_robin_scheduling 0
		.amdhsa_exception_fp_ieee_invalid_op 0
		.amdhsa_exception_fp_denorm_src 0
		.amdhsa_exception_fp_ieee_div_zero 0
		.amdhsa_exception_fp_ieee_overflow 0
		.amdhsa_exception_fp_ieee_underflow 0
		.amdhsa_exception_fp_ieee_inexact 0
		.amdhsa_exception_int_div_zero 0
	.end_amdhsa_kernel
	.text
.Lfunc_end0:
	.size	_Z6kernelPfS_iiiiiffi, .Lfunc_end0-_Z6kernelPfS_iiiiiffi
                                        ; -- End function
	.set _Z6kernelPfS_iiiiiffi.num_vgpr, 13
	.set _Z6kernelPfS_iiiiiffi.num_agpr, 0
	.set _Z6kernelPfS_iiiiiffi.numbered_sgpr, 16
	.set _Z6kernelPfS_iiiiiffi.num_named_barrier, 0
	.set _Z6kernelPfS_iiiiiffi.private_seg_size, 0
	.set _Z6kernelPfS_iiiiiffi.uses_vcc, 1
	.set _Z6kernelPfS_iiiiiffi.uses_flat_scratch, 0
	.set _Z6kernelPfS_iiiiiffi.has_dyn_sized_stack, 0
	.set _Z6kernelPfS_iiiiiffi.has_recursion, 0
	.set _Z6kernelPfS_iiiiiffi.has_indirect_call, 0
	.section	.AMDGPU.csdata,"",@progbits
; Kernel info:
; codeLenInByte = 560
; TotalNumSgprs: 18
; NumVgprs: 13
; ScratchSize: 0
; MemoryBound: 0
; FloatMode: 240
; IeeeMode: 1
; LDSByteSize: 0 bytes/workgroup (compile time only)
; SGPRBlocks: 0
; VGPRBlocks: 0
; NumSGPRsForWavesPerEU: 18
; NumVGPRsForWavesPerEU: 13
; NamedBarCnt: 0
; Occupancy: 16
; WaveLimiterHint : 0
; COMPUTE_PGM_RSRC2:SCRATCH_EN: 0
; COMPUTE_PGM_RSRC2:USER_SGPR: 2
; COMPUTE_PGM_RSRC2:TRAP_HANDLER: 0
; COMPUTE_PGM_RSRC2:TGID_X_EN: 1
; COMPUTE_PGM_RSRC2:TGID_Y_EN: 1
; COMPUTE_PGM_RSRC2:TGID_Z_EN: 0
; COMPUTE_PGM_RSRC2:TIDIG_COMP_CNT: 1
	.text
	.protected	_Z7kernel2PfPKfS1_S1_S1_iiiiii ; -- Begin function _Z7kernel2PfPKfS1_S1_S1_iiiiii
	.globl	_Z7kernel2PfPKfS1_S1_S1_iiiiii
	.p2align	8
	.type	_Z7kernel2PfPKfS1_S1_S1_iiiiii,@function
_Z7kernel2PfPKfS1_S1_S1_iiiiii:         ; @_Z7kernel2PfPKfS1_S1_S1_iiiiii
; %bb.0:
	s_clause 0x3
	s_load_b128 s[12:15], s[0:1], 0x28
	s_load_b64 s[2:3], s[0:1], 0x38
	s_load_b64 s[16:17], s[0:1], 0x20
	s_load_b256 s[4:11], s[0:1], 0x0
	s_wait_kmcnt 0x0
	s_cmp_lt_i32 s13, 3
	s_mul_i32 s24, s2, 12
	s_cselect_b32 s25, -1, 0
	s_cmp_gt_i32 s3, 2
	s_cselect_b32 s26, -1, 0
	s_delay_alu instid0(SALU_CYCLE_1) | instskip(NEXT) | instid1(SALU_CYCLE_1)
	s_and_b32 s0, s25, s26
	s_and_not1_b32 vcc_lo, exec_lo, s0
	s_cbranch_vccnz .LBB1_3
; %bb.1:
	v_mov_b32_e32 v8, 0
	s_add_co_i32 s22, s3, -2
	s_add_nc_u64 s[0:1], s[6:7], 8
	s_mov_b32 s19, 0
	s_mov_b32 s23, 0x3e76c4e1
.LBB1_2:                                ; =>This Inner Loop Header: Depth=1
	s_add_co_i32 s18, s24, s19
	s_wait_xcnt 0x0
	v_mov_b32_e32 v2, s19
	s_ashr_i32 s19, s18, 31
	s_delay_alu instid0(SALU_CYCLE_1) | instskip(NEXT) | instid1(SALU_CYCLE_1)
	s_lshl_b64 s[20:21], s[18:19], 2
	s_add_nc_u64 s[20:21], s[4:5], s[20:21]
	s_clause 0x1
	global_load_b64 v[0:1], v8, s[20:21] offset:12
	global_load_b32 v3, v2, s[4:5] offset:12 scale_offset
	global_load_b32 v9, v8, s[0:1]
	s_wait_xcnt 0x0
	s_add_nc_u64 s[0:1], s[0:1], 4
	s_wait_loadcnt 0x2
	v_readfirstlane_b32 s19, v1
	v_readfirstlane_b32 s21, v0
	s_wait_loadcnt 0x1
	v_readfirstlane_b32 s20, v3
	s_delay_alu instid0(VALU_DEP_3) | instskip(SKIP_3) | instid1(VALU_DEP_2)
	v_cvt_f64_f32_e64 v[0:1], |s19|
	v_frexp_mant_f32_e64 v4, |s19|
	s_add_f32 s27, s21, s20
	v_cmp_class_f32_e64 s29, s19, 0x204
	v_readfirstlane_b32 s20, v4
	s_delay_alu instid0(SALU_CYCLE_1)
	v_cvt_f64_f32_e64 v[2:3], |s27|
	v_frexp_mant_f32_e64 v5, |s27|
	v_cmp_class_f32_e64 s28, s27, 0x204
	s_cmp_lt_f32 s20, 0x3f2aaaab
	v_readfirstlane_b32 s21, v5
	s_cselect_b32 vcc_lo, -1, 0
	s_delay_alu instid0(SALU_CYCLE_1) | instskip(SKIP_1) | instid1(SALU_CYCLE_1)
	s_and_b32 s30, vcc_lo, exec_lo
	s_cselect_b32 s30, 2.0, 1.0
	s_mul_f32 s20, s20, s30
	s_delay_alu instid0(SALU_CYCLE_3) | instskip(SKIP_1) | instid1(SALU_CYCLE_2)
	s_add_f32 s30, s20, 1.0
	s_add_f32 s31, s20, -1.0
	v_s_rcp_f32 s33, s30
	s_add_f32 s34, s30, -1.0
	v_frexp_exp_i32_f64_e32 v0, v[0:1]
	s_delay_alu instid0(SALU_CYCLE_2) | instskip(NEXT) | instid1(TRANS32_DEP_1)
	s_sub_f32 s20, s20, s34
	s_mul_f32 s34, s31, s33
	v_frexp_exp_i32_f64_e32 v7, v[2:3]
	s_delay_alu instid0(SALU_CYCLE_2) | instskip(SKIP_1) | instid1(SALU_CYCLE_2)
	s_mul_f32 s35, s30, s34
	v_mov_b32_e32 v3, s31
	s_xor_b32 s36, s35, 0x80000000
	s_delay_alu instid0(SALU_CYCLE_1) | instskip(NEXT) | instid1(SALU_CYCLE_3)
	s_fmac_f32 s36, s34, s30
	s_fmac_f32 s36, s34, s20
	s_delay_alu instid0(SALU_CYCLE_3) | instskip(SKIP_1) | instid1(SALU_CYCLE_3)
	v_dual_mov_b32 v4, s35 :: v_dual_mov_b32 v10, s36
	s_add_f32 s20, s35, s36
	s_sub_f32 s30, s31, s20
	v_dual_mov_b32 v2, s20 :: v_dual_mov_b32 v11, s20
	s_delay_alu instid0(SALU_CYCLE_2) | instskip(SKIP_1) | instid1(VALU_DEP_2)
	v_mov_b32_e32 v5, s30
	v_subrev_co_ci_u32_e64 v0, null, 0, v0, vcc_lo
	v_pk_add_f32 v[2:3], v[2:3], v[4:5] neg_lo:[0,1] neg_hi:[0,1]
	s_delay_alu instid0(VALU_DEP_2) | instskip(NEXT) | instid1(VALU_DEP_2)
	v_cvt_f32_i32_e32 v1, v0
	v_pk_add_f32 v[2:3], v[2:3], v[10:11] neg_lo:[0,1] neg_hi:[0,1]
	s_delay_alu instid0(VALU_DEP_2) | instskip(NEXT) | instid1(VALU_DEP_2)
	v_mul_f32_e32 v6, 0x3f317218, v1
	v_readfirstlane_b32 s20, v3
	s_delay_alu instid0(VALU_DEP_2) | instskip(NEXT) | instid1(VALU_DEP_4)
	v_xor_b32_e32 v0, 0x80000000, v6
	v_readfirstlane_b32 s31, v2
	s_delay_alu instid0(VALU_DEP_2) | instskip(SKIP_1) | instid1(SALU_CYCLE_3)
	v_fmac_f32_e32 v0, 0x3f317218, v1
	s_add_f32 s20, s31, s20
	s_add_f32 s20, s30, s20
	s_delay_alu instid0(SALU_CYCLE_3) | instskip(NEXT) | instid1(SALU_CYCLE_3)
	s_mul_f32 s30, s33, s20
	s_add_f32 s20, s34, s30
	s_delay_alu instid0(SALU_CYCLE_3) | instskip(SKIP_1) | instid1(SALU_CYCLE_2)
	s_sub_f32 s31, s20, s34
	s_mul_f32 s33, s20, s20
	s_sub_f32 s34, s30, s31
	s_delay_alu instid0(SALU_CYCLE_2) | instskip(NEXT) | instid1(SALU_CYCLE_1)
	s_xor_b32 s31, s33, 0x80000000
	s_fmac_f32 s31, s20, s20
	s_delay_alu instid0(SALU_CYCLE_1) | instskip(SKIP_1) | instid1(SALU_CYCLE_2)
	s_add_f32 s30, s34, s34
	v_ldexp_f32 v3, s34, 1
	s_fmac_f32 s31, s20, s30
	s_delay_alu instid0(SALU_CYCLE_3) | instskip(NEXT) | instid1(SALU_CYCLE_3)
	s_add_f32 s30, s33, s31
	s_fmaak_f32 s35, s30, s23, 0x3e91f4c4
	s_sub_f32 s33, s30, s33
	s_delay_alu instid0(SALU_CYCLE_2) | instskip(NEXT) | instid1(SALU_CYCLE_2)
	s_fmaak_f32 s35, s30, s35, 0x3ecccdef
	s_sub_f32 s33, s31, s33
	s_delay_alu instid0(SALU_CYCLE_2) | instskip(NEXT) | instid1(SALU_CYCLE_3)
	s_mul_f32 s31, s30, s35
	s_xor_b32 s36, s31, 0x80000000
	s_cmp_lt_f32 s21, 0x3f2aaaab
	s_fmac_f32 s36, s30, s35
	s_cselect_b32 vcc_lo, -1, 0
	s_delay_alu instid0(SALU_CYCLE_2)
	s_fmac_f32 s36, s33, s35
	s_and_b32 s35, vcc_lo, exec_lo
	v_subrev_co_ci_u32_e64 v2, null, 0, v7, vcc_lo
	s_cselect_b32 s35, 2.0, 1.0
	s_add_f32 s37, s31, s36
	s_mul_f32 s35, s21, s35
	v_cvt_f32_i32_e32 v5, v2
	s_delay_alu instid0(SALU_CYCLE_1)
	s_add_f32 s38, s37, 0x3f2aaaaa
	s_sub_f32 s21, s37, s31
	s_add_f32 s39, s35, 1.0
	s_add_f32 s40, s35, -1.0
	v_dual_fmac_f32 v0, 0xb102e308, v1 :: v_dual_mov_b32 v11, s38
	s_sub_f32 s21, s36, s21
	s_add_f32 s31, s38, 0xbf2aaaaa
	v_s_rcp_f32 s41, s39
	s_add_f32 s36, s39, -1.0
	v_mov_b32_e32 v13, s40
	v_ldexp_f32 v1, s20, 1
	s_add_f32 s21, s21, 0x31739010
	s_sub_f32 s31, s37, s31
	s_sub_f32 s35, s35, s36
	s_delay_alu instid0(SALU_CYCLE_1) | instskip(NEXT) | instid1(SALU_CYCLE_1)
	v_mov_b64_e32 v[14:15], s[20:21]
	v_mov_b64_e32 v[16:17], s[30:31]
	s_mul_f32 s21, s40, s41
	s_delay_alu instid0(SALU_CYCLE_3) | instskip(NEXT) | instid1(VALU_DEP_1)
	s_mul_f32 s31, s39, s21
	v_pk_mul_f32 v[18:19], v[14:15], v[16:17]
	v_pk_add_f32 v[14:15], v[14:15], v[16:17]
	v_mul_f32_e32 v2, 0x3f317218, v5
	s_xor_b32 s36, s31, 0x80000000
	s_delay_alu instid0(SALU_CYCLE_1)
	s_fmac_f32 s36, s21, s39
	v_xor_b32_e32 v10, 0x80000000, v18
	v_mov_b32_e32 v19, v15
	v_xor_b32_e32 v4, 0x80000000, v2
	s_fmac_f32 s36, s21, s35
	v_mov_b32_e32 v16, s31
	v_fmac_f32_e64 v10, s30, s20
	s_delay_alu instid0(SALU_CYCLE_1) | instskip(SKIP_1) | instid1(VALU_DEP_2)
	s_add_f32 s31, s31, s36
	v_mov_b32_e32 v20, s36
	v_fmac_f32_e64 v10, s30, s34
	s_delay_alu instid0(SALU_CYCLE_1) | instskip(SKIP_1) | instid1(VALU_DEP_2)
	s_sub_f32 s30, s40, s31
	v_dual_fmac_f32 v4, 0x3f317218, v5 :: v_dual_mov_b32 v21, s31
	v_fmac_f32_e64 v10, s33, s20
	s_delay_alu instid0(VALU_DEP_2) | instid1(SALU_CYCLE_1)
	v_dual_mov_b32 v17, s30 :: v_dual_fmac_f32 v4, 0xb102e308, v5
	s_delay_alu instid0(VALU_DEP_2) | instskip(NEXT) | instid1(VALU_DEP_1)
	v_pk_add_f32 v[22:23], v[18:19], v[10:11]
	v_dual_mov_b32 v12, s31 :: v_dual_sub_f32 v5, v22, v18
	s_delay_alu instid0(VALU_DEP_1) | instskip(NEXT) | instid1(VALU_DEP_3)
	v_pk_add_f32 v[12:13], v[12:13], v[16:17] neg_lo:[0,1] neg_hi:[0,1]
	v_dual_sub_f32 v7, s38, v23 :: v_dual_mov_b32 v14, v23
	s_delay_alu instid0(VALU_DEP_3) | instskip(NEXT) | instid1(VALU_DEP_3)
	v_sub_f32_e32 v5, v10, v5
	v_pk_add_f32 v[12:13], v[12:13], v[20:21] neg_lo:[0,1] neg_hi:[0,1]
	s_delay_alu instid0(VALU_DEP_3) | instskip(NEXT) | instid1(VALU_DEP_4)
	v_add_f32_e32 v7, v15, v7
	v_pk_mul_f32 v[10:11], v[22:23], v[14:15]
	s_delay_alu instid0(VALU_DEP_3) | instskip(NEXT) | instid1(VALU_DEP_4)
	v_readfirstlane_b32 s20, v13
	v_readfirstlane_b32 s31, v12
	s_delay_alu instid0(VALU_DEP_3) | instskip(SKIP_2) | instid1(VALU_DEP_2)
	v_xor_b32_e32 v12, 0x80000000, v10
	v_mov_b32_e32 v11, v1
	s_add_f32 s20, s31, s20
	v_fmac_f32_e32 v12, v22, v23
	s_delay_alu instid0(SALU_CYCLE_2) | instskip(NEXT) | instid1(VALU_DEP_1)
	s_add_f32 s20, s30, s20
	v_fmac_f32_e32 v12, v22, v7
	s_delay_alu instid0(SALU_CYCLE_2) | instskip(NEXT) | instid1(VALU_DEP_1)
	s_mul_f32 s20, s41, s20
	v_fmac_f32_e32 v12, v5, v23
	s_delay_alu instid0(SALU_CYCLE_2) | instskip(NEXT) | instid1(VALU_DEP_1)
	s_add_f32 s30, s21, s20
	v_add_f32_e32 v7, v10, v12
	s_delay_alu instid0(SALU_CYCLE_2) | instskip(SKIP_2) | instid1(SALU_CYCLE_1)
	s_sub_f32 s21, s30, s21
	s_mul_f32 s31, s30, s30
	v_ldexp_f32 v5, s30, 1
	s_sub_f32 s33, s20, s21
	s_delay_alu instid0(SALU_CYCLE_1) | instskip(SKIP_4) | instid1(VALU_DEP_2)
	s_xor_b32 s20, s31, 0x80000000
	v_pk_add_f32 v[14:15], v[6:7], v[0:1]
	s_fmac_f32 s20, s30, s30
	s_add_f32 s21, s33, s33
	v_ldexp_f32 v29, s33, 1
	v_dual_mov_b32 v17, v15 :: v_dual_mov_b32 v16, v7
	v_dual_mov_b32 v13, v7 :: v_dual_mov_b32 v1, v14
	v_mov_b32_e32 v18, v15
	s_fmac_f32 s20, s30, s21
	s_delay_alu instid0(VALU_DEP_3) | instskip(NEXT) | instid1(SALU_CYCLE_2)
	v_pk_add_f32 v[10:11], v[16:17], v[10:11] neg_lo:[0,1] neg_hi:[0,1]
	s_add_f32 s34, s31, s20
	s_delay_alu instid0(VALU_DEP_1) | instskip(SKIP_1) | instid1(SALU_CYCLE_1)
	v_pk_add_f32 v[10:11], v[12:13], v[10:11] neg_lo:[0,1] neg_hi:[0,1]
	v_mov_b32_e32 v21, v14
	s_fmaak_f32 s21, s34, s23, 0x3e91f4c4
	s_sub_f32 s31, s34, s31
	s_delay_alu instid0(VALU_DEP_2) | instskip(NEXT) | instid1(SALU_CYCLE_1)
	v_add_f32_e32 v3, v3, v10
	s_fmaak_f32 s35, s34, s21, 0x3ecccdef
	s_delay_alu instid0(SALU_CYCLE_1) | instskip(NEXT) | instid1(SALU_CYCLE_2)
	s_sub_f32 s36, s20, s31
	s_mul_f32 s31, s34, s35
	s_delay_alu instid0(VALU_DEP_1) | instskip(NEXT) | instid1(SALU_CYCLE_2)
	v_add_f32_e32 v7, v3, v11
	s_xor_b32 s37, s31, 0x80000000
	s_cmp_eq_f32 s19, 1.0
	s_fmac_f32 s37, s34, s35
	s_delay_alu instid0(VALU_DEP_1)
	v_pk_add_f32 v[12:13], v[14:15], v[6:7]
	v_pk_add_f32 v[10:11], v[14:15], v[6:7] neg_lo:[0,1] neg_hi:[0,1]
	s_cselect_b32 s21, 1.0, 2.0
	s_fmac_f32 s37, s36, s35
	s_cmp_eq_f32 s27, 1.0
	v_dual_mov_b32 v11, v13 :: v_dual_mov_b32 v20, v7
	s_delay_alu instid0(SALU_CYCLE_1) | instskip(SKIP_2) | instid1(VALU_DEP_1)
	s_add_f32 s35, s31, s37
	s_cselect_b32 s20, 1.0, 2.0
	s_trunc_f32 s38, s21
	v_pk_add_f32 v[16:17], v[0:1], v[10:11] neg_lo:[0,1] neg_hi:[0,1]
	s_add_f32 s43, s35, 0x3f2aaaaa
	s_sub_f32 s31, s35, s31
	v_pk_add_f32 v[0:1], v[0:1], v[10:11]
	s_delay_alu instid0(SALU_CYCLE_1) | instskip(NEXT) | instid1(SALU_CYCLE_1)
	v_dual_mov_b32 v0, v13 :: v_dual_mov_b32 v11, s43
	s_sub_f32 s31, s37, s31
	s_add_f32 s37, s43, 0xbf2aaaaa
	s_delay_alu instid0(VALU_DEP_2) | instskip(NEXT) | instid1(SALU_CYCLE_1)
	v_dual_mov_b32 v10, v1 :: v_dual_mov_b32 v17, v1
	s_add_f32 s31, s31, 0x31739010
	s_delay_alu instid0(SALU_CYCLE_1) | instskip(SKIP_1) | instid1(VALU_DEP_2)
	s_sub_f32 s35, s35, s37
	v_mov_b64_e32 v[6:7], s[20:21]
	v_pk_add_f32 v[14:15], v[10:11], v[14:15] neg_lo:[0,1] neg_hi:[0,1]
	v_mov_b64_e32 v[22:23], s[30:31]
	v_mov_b64_e32 v[24:25], s[34:35]
	s_trunc_f32 s40, s20
	s_mul_f32 s41, s20, 0.5
	v_dual_mov_b32 v3, v14 :: v_dual_mov_b32 v19, v14
	s_mul_f32 s39, s21, 0.5
	s_delay_alu instid0(SALU_CYCLE_1) | instskip(NEXT) | instid1(VALU_DEP_2)
	s_trunc_f32 s44, s41
	v_pk_mul_f32 v[26:27], v[22:23], v[24:25]
	v_pk_add_f32 v[14:15], v[22:23], v[24:25]
	v_pk_add_f32 v[12:13], v[12:13], v[2:3] neg_lo:[0,1] neg_hi:[0,1]
	v_mov_b32_e32 v12, v16
	s_trunc_f32 s42, s39
	v_xor_b32_e32 v10, 0x80000000, v26
	v_mov_b32_e32 v27, v15
	v_pk_add_f32 v[18:19], v[0:1], v[18:19] neg_lo:[0,1] neg_hi:[0,1]
	s_delay_alu instid0(VALU_DEP_3) | instskip(NEXT) | instid1(VALU_DEP_2)
	v_fmac_f32_e64 v10, s34, s30
	v_pk_add_f32 v[18:19], v[20:21], v[18:19] neg_lo:[0,1] neg_hi:[0,1]
	s_delay_alu instid0(VALU_DEP_2) | instskip(NEXT) | instid1(VALU_DEP_2)
	v_fmac_f32_e64 v10, s34, s33
	v_pk_add_f32 v[12:13], v[12:13], v[18:19]
	s_delay_alu instid0(VALU_DEP_2) | instskip(NEXT) | instid1(VALU_DEP_2)
	v_fmac_f32_e64 v10, s36, s30
	v_mov_b32_e32 v23, v13
	s_delay_alu instid0(VALU_DEP_2) | instskip(NEXT) | instid1(VALU_DEP_1)
	v_pk_add_f32 v[24:25], v[26:27], v[10:11]
	v_dual_mov_b32 v21, v12 :: v_dual_mov_b32 v0, v25
	s_delay_alu instid0(VALU_DEP_2) | instskip(NEXT) | instid1(VALU_DEP_2)
	v_dual_sub_f32 v3, v24, v26 :: v_dual_sub_f32 v11, s43, v25
	v_pk_mul_f32 v[26:27], v[24:25], v[0:1]
	s_delay_alu instid0(VALU_DEP_2) | instskip(NEXT) | instid1(VALU_DEP_2)
	v_dual_sub_f32 v0, v10, v3 :: v_dual_mov_b32 v27, v5
	v_xor_b32_e32 v10, 0x80000000, v26
	s_delay_alu instid0(VALU_DEP_1) | instskip(NEXT) | instid1(VALU_DEP_1)
	v_dual_add_f32 v3, v15, v11 :: v_dual_fmac_f32 v10, v24, v25
	v_fmac_f32_e32 v10, v24, v3
	s_delay_alu instid0(VALU_DEP_1) | instskip(NEXT) | instid1(VALU_DEP_1)
	v_fmac_f32_e32 v10, v0, v25
	v_add_f32_e32 v3, v26, v10
	s_delay_alu instid0(VALU_DEP_1) | instskip(NEXT) | instid1(VALU_DEP_1)
	v_pk_add_f32 v[14:15], v[2:3], v[4:5]
	v_dual_mov_b32 v25, v15 :: v_dual_mov_b32 v24, v3
	s_delay_alu instid0(VALU_DEP_2) | instskip(SKIP_1) | instid1(VALU_DEP_3)
	v_dual_mov_b32 v11, v3 :: v_dual_mov_b32 v5, v14
	v_mov_b32_e32 v28, v15
	v_pk_add_f32 v[24:25], v[24:25], v[26:27] neg_lo:[0,1] neg_hi:[0,1]
	s_delay_alu instid0(VALU_DEP_1) | instskip(NEXT) | instid1(VALU_DEP_1)
	v_pk_add_f32 v[10:11], v[10:11], v[24:25] neg_lo:[0,1] neg_hi:[0,1]
	v_dual_mov_b32 v31, v14 :: v_dual_add_f32 v0, v29, v10
	s_delay_alu instid0(VALU_DEP_1) | instskip(NEXT) | instid1(VALU_DEP_1)
	v_add_f32_e32 v3, v0, v11
	v_pk_add_f32 v[10:11], v[14:15], v[2:3]
	v_pk_add_f32 v[24:25], v[14:15], v[2:3] neg_lo:[0,1] neg_hi:[0,1]
	s_delay_alu instid0(VALU_DEP_2) | instskip(NEXT) | instid1(VALU_DEP_1)
	v_dual_mov_b32 v25, v11 :: v_dual_mov_b32 v30, v3
	v_pk_add_f32 v[2:3], v[4:5], v[24:25]
	v_pk_add_f32 v[4:5], v[4:5], v[24:25] neg_lo:[0,1] neg_hi:[0,1]
	s_delay_alu instid0(VALU_DEP_2) | instskip(SKIP_1) | instid1(VALU_DEP_2)
	v_dual_mov_b32 v2, v11 :: v_dual_mov_b32 v20, v3
	v_mov_b32_e32 v5, v3
	v_pk_add_f32 v[14:15], v[20:21], v[14:15] neg_lo:[0,1] neg_hi:[0,1]
	s_delay_alu instid0(VALU_DEP_1) | instskip(SKIP_1) | instid1(VALU_DEP_2)
	v_dual_mov_b32 v0, v3 :: v_dual_mov_b32 v29, v14
	v_mov_b32_e32 v13, v14
	v_pk_add_f32 v[2:3], v[2:3], v[28:29] neg_lo:[0,1] neg_hi:[0,1]
	s_delay_alu instid0(VALU_DEP_2) | instskip(SKIP_1) | instid1(VALU_DEP_3)
	v_pk_add_f32 v[10:11], v[10:11], v[12:13] neg_lo:[0,1] neg_hi:[0,1]
	v_mov_b32_e32 v10, v4
	v_pk_add_f32 v[2:3], v[30:31], v[2:3] neg_lo:[0,1] neg_hi:[0,1]
	s_delay_alu instid0(VALU_DEP_1) | instskip(NEXT) | instid1(VALU_DEP_1)
	v_pk_add_f32 v[10:11], v[10:11], v[2:3]
	v_dual_mov_b32 v20, v10 :: v_dual_mov_b32 v22, v11
	s_delay_alu instid0(VALU_DEP_1) | instskip(NEXT) | instid1(VALU_DEP_1)
	v_pk_add_f32 v[14:15], v[20:21], v[22:23]
	v_pk_add_f32 v[0:1], v[0:1], v[14:15]
	v_dual_mov_b32 v19, v15 :: v_dual_mov_b32 v3, v14
	s_delay_alu instid0(VALU_DEP_2) | instskip(NEXT) | instid1(VALU_DEP_1)
	v_dual_mov_b32 v11, v0 :: v_dual_mov_b32 v13, v1
	v_pk_add_f32 v[10:11], v[10:11], v[4:5] neg_lo:[0,1] neg_hi:[0,1]
	s_delay_alu instid0(VALU_DEP_2) | instskip(NEXT) | instid1(VALU_DEP_2)
	v_pk_add_f32 v[12:13], v[12:13], v[16:17] neg_lo:[0,1] neg_hi:[0,1]
	v_dual_mov_b32 v5, v16 :: v_dual_mov_b32 v14, v10
	s_delay_alu instid0(VALU_DEP_3) | instskip(NEXT) | instid1(VALU_DEP_3)
	v_pk_add_f32 v[2:3], v[2:3], v[10:11] neg_lo:[0,1] neg_hi:[0,1]
	v_mov_b32_e32 v15, v12
	s_delay_alu instid0(VALU_DEP_4) | instskip(NEXT) | instid1(VALU_DEP_2)
	v_pk_add_f32 v[10:11], v[18:19], v[12:13] neg_lo:[0,1] neg_hi:[0,1]
	v_pk_add_f32 v[12:13], v[20:21], v[14:15] neg_lo:[0,1] neg_hi:[0,1]
	s_delay_alu instid0(VALU_DEP_2) | instskip(SKIP_1) | instid1(VALU_DEP_3)
	v_dual_mov_b32 v14, v2 :: v_dual_mov_b32 v15, v10
	v_mov_b32_e32 v10, v3
	v_pk_add_f32 v[2:3], v[4:5], v[12:13] neg_lo:[0,1] neg_hi:[0,1]
	s_delay_alu instid0(VALU_DEP_1) | instskip(NEXT) | instid1(VALU_DEP_1)
	v_pk_add_f32 v[2:3], v[14:15], v[2:3]
	v_pk_add_f32 v[2:3], v[2:3], v[10:11]
	s_delay_alu instid0(VALU_DEP_1) | instskip(NEXT) | instid1(VALU_DEP_1)
	v_pk_add_f32 v[4:5], v[0:1], v[2:3]
	v_pk_add_f32 v[0:1], v[4:5], v[0:1] neg_lo:[0,1] neg_hi:[0,1]
	v_pk_mul_f32 v[10:11], v[6:7], v[4:5]
	s_delay_alu instid0(VALU_DEP_2) | instskip(NEXT) | instid1(VALU_DEP_2)
	v_pk_add_f32 v[0:1], v[2:3], v[0:1] neg_lo:[0,1] neg_hi:[0,1]
	v_pk_fma_f32 v[2:3], v[6:7], v[4:5], v[10:11] neg_lo:[0,0,1] neg_hi:[0,0,1]
	v_readfirstlane_b32 s30, v10
	v_readfirstlane_b32 s31, v11
	s_delay_alu instid0(VALU_DEP_3) | instskip(NEXT) | instid1(VALU_DEP_3)
	v_pk_fma_f32 v[0:1], v[6:7], v[0:1], v[2:3]
	v_cmp_class_f32_e64 s33, s30, 0x204
	s_delay_alu instid0(VALU_DEP_3) | instskip(NEXT) | instid1(VALU_DEP_3)
	v_cmp_class_f32_e64 s34, s31, 0x204
	v_pk_add_f32 v[2:3], v[10:11], v[0:1]
	s_and_b32 s33, s33, exec_lo
	s_delay_alu instid0(VALU_DEP_1) | instskip(NEXT) | instid1(VALU_DEP_2)
	v_readfirstlane_b32 s33, v2
	v_pk_add_f32 v[4:5], v[2:3], v[10:11] neg_lo:[0,1] neg_hi:[0,1]
	v_readfirstlane_b32 s35, v3
	s_cselect_b32 s30, s30, s33
	v_pk_add_f32 v[0:1], v[0:1], v[4:5] neg_lo:[0,1] neg_hi:[0,1]
	s_and_b32 s33, s30, 0x7fffffff
	s_delay_alu instid0(SALU_CYCLE_1) | instskip(SKIP_4) | instid1(SALU_CYCLE_1)
	s_cmp_neq_f32 s33, 0x7f800000
	s_cselect_b32 vcc_lo, -1, 0
	s_cmp_eq_f32 s30, 0x42b17218
	v_cndmask_b32_e32 v0, 0, v0, vcc_lo
	s_cselect_b32 s33, 0x37000000, 0
	s_sub_f32 s30, s30, s33
	s_delay_alu instid0(VALU_DEP_1) | instskip(NEXT) | instid1(SALU_CYCLE_2)
	v_add_f32_e32 v0, s33, v0
	s_mul_f32 s33, s30, 0x3fb8aa3b
	s_delay_alu instid0(SALU_CYCLE_3) | instskip(SKIP_3) | instid1(SALU_CYCLE_1)
	s_xor_b32 s36, s33, 0x80000000
	s_rndne_f32 s37, s33
	s_fmamk_f32 s36, s30, 0x3fb8aa3b, s36
	s_cmp_nlt_f32 s30, 0xc2ce8ed0
	s_sub_f32 s33, s33, s37
	s_delay_alu instid0(SALU_CYCLE_1) | instskip(SKIP_4) | instid1(SALU_CYCLE_3)
	s_fmamk_f32 s36, s30, 0x32a5705f, s36
	s_cvt_i32_f32 s37, s37
	s_cselect_b32 vcc_lo, -1, 0
	s_cmp_ngt_f32 s30, 0x42b17218
	s_add_f32 s33, s33, s36
	v_s_exp_f32 s33, s33
	v_nop
	s_delay_alu instid0(TRANS32_DEP_1) | instskip(NEXT) | instid1(VALU_DEP_1)
	v_ldexp_f32 v2, s33, s37
	v_cndmask_b32_e32 v2, 0, v2, vcc_lo
	s_cselect_b32 vcc_lo, -1, 0
	s_cmp_eq_f32 s40, s20
	s_delay_alu instid0(VALU_DEP_1) | instskip(SKIP_2) | instid1(VALU_DEP_1)
	v_cndmask_b32_e32 v2, 0x7f800000, v2, vcc_lo
	s_cselect_b32 s30, -1, 0
	s_cmp_neq_f32 s44, s41
	v_fma_f32 v0, v2, v0, v2
	v_cmp_class_f32_e64 vcc_lo, v2, 0x204
	s_cselect_b32 s33, -1, 0
	s_delay_alu instid0(SALU_CYCLE_1)
	s_and_b32 s30, s30, s33
	v_cndmask_b32_e32 v0, v0, v2, vcc_lo
	s_and_b32 s33, s30, exec_lo
	s_cselect_b32 s33, s27, 1.0
	s_cmp_eq_f32 s40, s20
	v_mov_b32_e32 v2, s18
	v_bfi_b32 v0, 0x7fffffff, v0, s33
	s_cselect_b32 s20, -1, 0
	s_delay_alu instid0(SALU_CYCLE_1) | instskip(NEXT) | instid1(VALU_DEP_1)
	s_and_b32 s20, s20, exec_lo
	v_readfirstlane_b32 s20, v0
	s_cselect_b32 s33, s20, 0x7fc00000
	s_and_b32 s34, s34, exec_lo
	s_cselect_b32 s31, s31, s35
	s_delay_alu instid0(SALU_CYCLE_1) | instskip(NEXT) | instid1(SALU_CYCLE_1)
	s_and_b32 s34, s31, 0x7fffffff
	s_cmp_neq_f32 s34, 0x7f800000
	s_cselect_b32 vcc_lo, -1, 0
	s_cmp_eq_f32 s31, 0x42b17218
	v_cndmask_b32_e32 v0, 0, v1, vcc_lo
	s_cselect_b32 s34, 0x37000000, 0
	s_delay_alu instid0(SALU_CYCLE_1) | instskip(NEXT) | instid1(VALU_DEP_1)
	s_sub_f32 s31, s31, s34
	v_add_f32_e32 v0, s34, v0
	s_delay_alu instid0(SALU_CYCLE_2) | instskip(NEXT) | instid1(SALU_CYCLE_3)
	s_mul_f32 s34, s31, 0x3fb8aa3b
	s_xor_b32 s35, s34, 0x80000000
	s_rndne_f32 s36, s34
	s_fmamk_f32 s35, s31, 0x3fb8aa3b, s35
	s_cmp_nlt_f32 s31, 0xc2ce8ed0
	s_delay_alu instid0(SALU_CYCLE_1) | instskip(NEXT) | instid1(SALU_CYCLE_1)
	s_sub_f32 s34, s34, s36
	s_fmamk_f32 s35, s31, 0x32a5705f, s35
	s_cvt_i32_f32 s36, s36
	s_cselect_b32 vcc_lo, -1, 0
	s_cmp_ngt_f32 s31, 0x42b17218
	s_add_f32 s34, s34, s35
	s_delay_alu instid0(SALU_CYCLE_3) | instskip(SKIP_1) | instid1(TRANS32_DEP_1)
	v_s_exp_f32 s34, s34
	v_nop
	v_ldexp_f32 v1, s34, s36
	s_delay_alu instid0(VALU_DEP_1) | instskip(SKIP_2) | instid1(VALU_DEP_1)
	v_cndmask_b32_e32 v1, 0, v1, vcc_lo
	s_cselect_b32 vcc_lo, -1, 0
	s_cmp_eq_f32 s38, s21
	v_cndmask_b32_e32 v1, 0x7f800000, v1, vcc_lo
	s_cselect_b32 s31, -1, 0
	s_cmp_neq_f32 s42, s39
	s_delay_alu instid0(VALU_DEP_1) | instskip(SKIP_2) | instid1(SALU_CYCLE_1)
	v_fma_f32 v0, v1, v0, v1
	v_cmp_class_f32_e64 vcc_lo, v1, 0x204
	s_cselect_b32 s34, -1, 0
	s_and_b32 s31, s31, s34
	v_cndmask_b32_e32 v0, v0, v1, vcc_lo
	s_and_b32 s34, s31, exec_lo
	s_cselect_b32 s34, s19, 1.0
	s_cmp_eq_f32 s38, s21
	s_delay_alu instid0(VALU_DEP_1) | instskip(SKIP_1) | instid1(SALU_CYCLE_1)
	v_bfi_b32 v0, 0x7fffffff, v0, s34
	s_cselect_b32 s21, -1, 0
	s_and_b32 s21, s21, exec_lo
	s_delay_alu instid0(VALU_DEP_1) | instskip(SKIP_3) | instid1(SALU_CYCLE_1)
	v_readfirstlane_b32 s21, v0
	s_cselect_b32 s34, s21, 0x7fc00000
	s_cmp_eq_f32 s19, 0
	s_cselect_b32 s35, -1, 0
	s_and_b32 s36, s35, exec_lo
	s_cselect_b32 s36, 0, 0x7f800000
	s_or_b32 s29, s35, s29
	s_cmp_lt_f32 s19, 0
	s_cselect_b32 s21, s34, s21
	s_and_b32 s31, s31, exec_lo
	s_cselect_b32 s31, s19, 0
	s_and_b32 s29, s29, exec_lo
	v_mov_b32_e32 v0, s31
	s_delay_alu instid0(VALU_DEP_1) | instskip(NEXT) | instid1(VALU_DEP_1)
	v_bfi_b32 v0, 0x7fffffff, s36, v0
	v_readfirstlane_b32 s29, v0
	s_cselect_b32 s21, s29, s21
	s_cmp_o_f32 s19, s19
	s_cselect_b32 s21, s21, 0x7fc00000
	s_cmp_lt_f32 s27, 0
	s_cselect_b32 s20, s33, s20
	s_cmp_eq_f32 s27, 0
	s_cselect_b32 s29, -1, 0
	s_delay_alu instid0(SALU_CYCLE_1)
	s_and_b32 s31, s29, exec_lo
	s_cselect_b32 s31, 0, 0x7f800000
	s_or_b32 s28, s29, s28
	s_and_b32 s29, s30, exec_lo
	s_cselect_b32 s29, s27, 0
	s_and_b32 s28, s28, exec_lo
	v_mov_b32_e32 v0, s29
	s_delay_alu instid0(VALU_DEP_1) | instskip(NEXT) | instid1(VALU_DEP_1)
	v_bfi_b32 v0, 0x7fffffff, s31, v0
	v_readfirstlane_b32 s29, v0
	s_cselect_b32 s20, s29, s20
	s_cmp_o_f32 s27, s27
	s_mul_f32 s20, s20, 0x3e800000
	s_delay_alu instid0(SALU_CYCLE_3) | instskip(NEXT) | instid1(SALU_CYCLE_1)
	s_cselect_b32 s20, s20, 0x7fc00000
	s_add_f32 s20, s21, s20
	s_delay_alu instid0(SALU_CYCLE_3) | instskip(SKIP_1) | instid1(SALU_CYCLE_2)
	s_mul_f32 s21, s20, 0x4f800000
	s_cmp_lt_f32 s20, 0xf800000
	s_cselect_b32 s21, s21, s20
	s_delay_alu instid0(SALU_CYCLE_1) | instskip(SKIP_1) | instid1(TRANS32_DEP_1)
	v_s_sqrt_f32 s27, s21
	s_mov_b32 s28, s21
	s_add_co_i32 s29, s27, -1
	s_delay_alu instid0(SALU_CYCLE_1) | instskip(NEXT) | instid1(SALU_CYCLE_1)
	s_xor_b32 s30, s29, 0x80000000
	s_fmac_f32 s28, s30, s27
	s_delay_alu instid0(SALU_CYCLE_3) | instskip(SKIP_3) | instid1(SALU_CYCLE_1)
	s_cmp_le_f32 s28, 0
	s_mov_b32 s28, s21
	s_cselect_b32 s29, s29, s27
	s_add_co_i32 s30, s27, 1
	s_xor_b32 s31, s30, 0x80000000
	s_delay_alu instid0(SALU_CYCLE_1) | instskip(SKIP_1) | instid1(SALU_CYCLE_2)
	s_fmac_f32 s28, s31, s27
	v_cmp_class_f32_e64 s27, s21, 0x260
	s_cmp_gt_f32 s28, 0
	s_cselect_b32 s28, s30, s29
	s_cmp_lt_f32 s20, 0xf800000
	s_mul_f32 s20, s28, 0x37800000
	s_delay_alu instid0(SALU_CYCLE_3)
	s_cselect_b32 s20, s20, s28
	s_and_b32 s27, s27, exec_lo
	s_cselect_b32 s20, s21, s20
	s_cmp_gt_f32 s19, 0
	s_wait_loadcnt 0x0
	v_mul_f32_e32 v0, s20, v9
	s_mov_b32 s19, s18
	s_cselect_b32 vcc_lo, -1, 0
	s_add_co_i32 s22, s22, -1
	s_delay_alu instid0(VALU_DEP_1) | instskip(SKIP_1) | instid1(VALU_DEP_1)
	v_xor_b32_e32 v1, 0x80000000, v0
	s_cmp_lg_u32 s22, 0
	v_cndmask_b32_e32 v0, v0, v1, vcc_lo
	global_store_b32 v2, v0, s[4:5] offset:4 scale_offset
	s_cbranch_scc1 .LBB1_2
.LBB1_3:
	s_cmp_gt_i32 s12, 2
	s_cselect_b32 s0, -1, 0
	s_cmp_gt_i32 s2, 2
	s_cselect_b32 s27, -1, 0
	s_cmp_lt_i32 s2, 3
	s_cselect_b32 s1, -1, 0
	s_delay_alu instid0(SALU_CYCLE_1) | instskip(NEXT) | instid1(SALU_CYCLE_1)
	s_or_b32 s0, s0, s1
	s_and_b32 vcc_lo, exec_lo, s0
	s_cbranch_vccnz .LBB1_8
; %bb.4:
	s_wait_xcnt 0x0
	v_mov_b32_e32 v2, 0
	s_add_co_i32 s12, s2, -2
	s_add_nc_u64 s[8:9], s[8:9], 8
	s_mov_b32 s18, 13
	s_mov_b32 s28, 0x3e76c4e1
	s_branch .LBB1_6
.LBB1_5:                                ;   in Loop: Header=BB1_6 Depth=1
	s_add_co_i32 s12, s12, -1
	s_add_co_i32 s18, s18, 12
	s_cmp_lg_u32 s12, 0
	s_add_nc_u64 s[8:9], s[8:9], 4
	s_cbranch_scc0 .LBB1_8
.LBB1_6:                                ; =>This Inner Loop Header: Depth=1
	s_add_co_i32 s20, s18, -1
	s_delay_alu instid0(SALU_CYCLE_1) | instskip(SKIP_2) | instid1(SALU_CYCLE_1)
	s_ashr_i32 s21, s20, 31
	s_wait_xcnt 0x0
	s_lshl_b64 s[0:1], s[20:21], 2
	s_add_nc_u64 s[0:1], s[4:5], s[0:1]
	s_clause 0x1
	global_load_b64 v[0:1], v2, s[0:1] offset:12
	global_load_b32 v3, v2, s[8:9]
	s_wait_loadcnt 0x1
	v_readfirstlane_b32 s19, v0
	s_delay_alu instid0(VALU_DEP_1) | instskip(NEXT) | instid1(VALU_DEP_1)
	v_cvt_f64_f32_e64 v[4:5], |s19|
	v_frexp_exp_i32_f64_e32 v0, v[4:5]
	v_frexp_mant_f32_e64 v4, |s19|
	s_wait_xcnt 0x1
	s_delay_alu instid0(VALU_DEP_1) | instskip(SKIP_2) | instid1(SALU_CYCLE_1)
	v_readfirstlane_b32 s0, v4
	s_cmp_lt_f32 s0, 0x3f2aaaab
	s_cselect_b32 vcc_lo, -1, 0
	s_and_b32 s1, vcc_lo, exec_lo
	s_cselect_b32 s1, 2.0, 1.0
	s_add_co_i32 s21, s18, -9
	s_mul_f32 s0, s0, s1
	s_delay_alu instid0(SALU_CYCLE_3) | instskip(NEXT) | instid1(SALU_CYCLE_3)
	s_add_f32 s1, s0, 1.0
	v_s_rcp_f32 s22, s1
	s_add_f32 s30, s1, -1.0
	v_subrev_co_ci_u32_e64 v16, null, 0, v0, vcc_lo
	v_mov_b32_e32 v0, s21
	s_add_f32 s21, s0, -1.0
	s_sub_f32 s0, s0, s30
	s_delay_alu instid0(VALU_DEP_2) | instskip(NEXT) | instid1(SALU_CYCLE_1)
	v_cvt_f32_i32_e32 v23, v16
	v_mov_b32_e32 v5, s21
	global_load_b32 v8, v0, s[4:5] scale_offset
	s_mul_f32 s23, s21, s22
	s_delay_alu instid0(SALU_CYCLE_3) | instskip(NEXT) | instid1(SALU_CYCLE_3)
	s_mul_f32 s29, s1, s23
	s_xor_b32 s31, s29, 0x80000000
	s_delay_alu instid0(SALU_CYCLE_1) | instskip(NEXT) | instid1(SALU_CYCLE_3)
	s_fmac_f32 s31, s23, s1
	s_fmac_f32 s31, s23, s0
	s_delay_alu instid0(SALU_CYCLE_3) | instskip(SKIP_2) | instid1(SALU_CYCLE_1)
	s_add_f32 s0, s29, s31
	s_wait_xcnt 0x0
	v_dual_mov_b32 v6, s29 :: v_dual_mov_b32 v0, s31
	s_sub_f32 s1, s21, s0
	v_mov_b32_e32 v4, s0
	v_readfirstlane_b32 s0, v1
	s_delay_alu instid0(VALU_DEP_2) | instid1(SALU_CYCLE_1)
	v_dual_mov_b32 v7, s1 :: v_dual_mov_b32 v1, v4
	s_delay_alu instid0(VALU_DEP_1) | instskip(NEXT) | instid1(VALU_DEP_1)
	v_pk_add_f32 v[4:5], v[4:5], v[6:7] neg_lo:[0,1] neg_hi:[0,1]
	v_pk_add_f32 v[0:1], v[4:5], v[0:1] neg_lo:[0,1] neg_hi:[0,1]
	s_delay_alu instid0(VALU_DEP_1) | instskip(SKIP_4) | instid1(SALU_CYCLE_2)
	v_readfirstlane_b32 s29, v0
	s_wait_loadcnt 0x0
	v_readfirstlane_b32 s21, v8
	s_add_f32 s21, s0, s21
	v_readfirstlane_b32 s0, v1
	v_cvt_f64_f32_e64 v[4:5], |s21|
	v_frexp_mant_f32_e64 v1, |s21|
	s_add_f32 s0, s29, s0
	s_delay_alu instid0(SALU_CYCLE_3) | instskip(NEXT) | instid1(SALU_CYCLE_3)
	s_add_f32 s0, s1, s0
	s_mul_f32 s1, s22, s0
	s_delay_alu instid0(SALU_CYCLE_3) | instskip(NEXT) | instid1(SALU_CYCLE_3)
	s_add_f32 s0, s23, s1
	s_sub_f32 s22, s0, s23
	s_mul_f32 s23, s0, s0
	s_delay_alu instid0(SALU_CYCLE_2) | instskip(NEXT) | instid1(SALU_CYCLE_2)
	s_sub_f32 s29, s1, s22
	s_xor_b32 s1, s23, 0x80000000
	s_delay_alu instid0(SALU_CYCLE_1) | instskip(NEXT) | instid1(SALU_CYCLE_1)
	s_fmac_f32 s1, s0, s0
	s_add_f32 s22, s29, s29
	s_delay_alu instid0(SALU_CYCLE_3) | instskip(NEXT) | instid1(VALU_DEP_2)
	s_fmac_f32 s1, s0, s22
	v_frexp_exp_i32_f64_e32 v0, v[4:5]
	s_delay_alu instid0(SALU_CYCLE_2) | instskip(NEXT) | instid1(SALU_CYCLE_3)
	s_add_f32 s22, s23, s1
	s_fmaak_f32 s30, s22, s28, 0x3e91f4c4
	s_sub_f32 s23, s22, s23
	s_delay_alu instid0(SALU_CYCLE_2) | instskip(SKIP_1) | instid1(SALU_CYCLE_2)
	s_fmaak_f32 s31, s22, s30, 0x3ecccdef
	v_readfirstlane_b32 s30, v1
	s_mul_f32 s33, s22, s31
	s_delay_alu instid0(SALU_CYCLE_3) | instskip(SKIP_3) | instid1(SALU_CYCLE_1)
	s_xor_b32 s35, s33, 0x80000000
	s_cmp_lt_f32 s30, 0x3f2aaaab
	s_fmac_f32 s35, s22, s31
	s_cselect_b32 vcc_lo, -1, 0
	s_and_b32 s34, vcc_lo, exec_lo
	s_cselect_b32 s34, 2.0, 1.0
	s_delay_alu instid0(SALU_CYCLE_1) | instskip(NEXT) | instid1(SALU_CYCLE_3)
	s_mul_f32 s30, s30, s34
	s_add_f32 s34, s30, 1.0
	s_add_f32 s37, s30, -1.0
	v_subrev_co_ci_u32_e64 v17, null, 0, v0, vcc_lo
	s_delay_alu instid0(SALU_CYCLE_1) | instskip(SKIP_1) | instid1(SALU_CYCLE_3)
	v_s_rcp_f32 s36, s34
	s_add_f32 s40, s34, -1.0
	s_sub_f32 s30, s30, s40
	s_delay_alu instid0(TRANS32_DEP_1) | instskip(NEXT) | instid1(SALU_CYCLE_3)
	s_mul_f32 s38, s37, s36
	s_mul_f32 s39, s34, s38
	s_delay_alu instid0(SALU_CYCLE_3) | instskip(SKIP_2) | instid1(SALU_CYCLE_3)
	s_xor_b32 s41, s39, 0x80000000
	v_mov_b32_e32 v4, s39
	s_fmac_f32 s41, s38, s34
	s_fmac_f32 s41, s38, s30
	s_delay_alu instid0(SALU_CYCLE_3)
	s_add_f32 s30, s39, s41
	v_mov_b32_e32 v1, s37
	s_sub_f32 s39, s1, s23
	v_mov_b32_e32 v6, s41
	s_sub_f32 s34, s37, s30
	v_dual_mov_b32 v0, s30 :: v_dual_mov_b32 v7, s30
	s_fmac_f32 s35, s39, s31
	s_delay_alu instid0(SALU_CYCLE_1) | instskip(NEXT) | instid1(SALU_CYCLE_2)
	v_mov_b32_e32 v5, s34
	s_add_f32 s23, s33, s35
	s_delay_alu instid0(VALU_DEP_1) | instskip(NEXT) | instid1(SALU_CYCLE_2)
	v_pk_add_f32 v[0:1], v[0:1], v[4:5] neg_lo:[0,1] neg_hi:[0,1]
	s_sub_f32 s33, s23, s33
	s_delay_alu instid0(VALU_DEP_1) | instskip(NEXT) | instid1(SALU_CYCLE_2)
	v_pk_add_f32 v[0:1], v[0:1], v[6:7] neg_lo:[0,1] neg_hi:[0,1]
	s_sub_f32 s33, s35, s33
	s_delay_alu instid0(VALU_DEP_1) | instskip(NEXT) | instid1(VALU_DEP_2)
	v_readfirstlane_b32 s30, v1
	v_readfirstlane_b32 s37, v0
	s_add_f32 s30, s37, s30
	s_delay_alu instid0(SALU_CYCLE_3) | instskip(NEXT) | instid1(SALU_CYCLE_3)
	s_add_f32 s30, s34, s30
	s_mul_f32 s34, s36, s30
	s_delay_alu instid0(SALU_CYCLE_3) | instskip(NEXT) | instid1(SALU_CYCLE_3)
	s_add_f32 s30, s38, s34
	s_sub_f32 s36, s30, s38
	s_mul_f32 s37, s30, s30
	s_delay_alu instid0(SALU_CYCLE_2) | instskip(NEXT) | instid1(SALU_CYCLE_2)
	s_sub_f32 s36, s34, s36
	s_xor_b32 s38, s37, 0x80000000
	s_delay_alu instid0(SALU_CYCLE_1) | instskip(NEXT) | instid1(SALU_CYCLE_1)
	s_fmac_f32 s38, s30, s30
	s_add_f32 s34, s36, s36
	s_delay_alu instid0(SALU_CYCLE_3) | instskip(NEXT) | instid1(SALU_CYCLE_3)
	s_fmac_f32 s38, s30, s34
	s_add_f32 s34, s37, s38
	s_delay_alu instid0(SALU_CYCLE_3) | instskip(SKIP_1) | instid1(SALU_CYCLE_2)
	s_fmaak_f32 s1, s34, s28, 0x3e91f4c4
	s_sub_f32 s37, s34, s37
	s_fmaak_f32 s1, s34, s1, 0x3ecccdef
	s_delay_alu instid0(SALU_CYCLE_2) | instskip(SKIP_1) | instid1(SALU_CYCLE_1)
	s_sub_f32 s37, s38, s37
	s_add_f32 s38, s23, 0x3f2aaaaa
	s_mul_f32 s31, s34, s1
	s_delay_alu instid0(SALU_CYCLE_2) | instskip(SKIP_1) | instid1(SALU_CYCLE_1)
	s_add_f32 s35, s38, 0xbf2aaaaa
	v_mov_b32_e32 v13, s38
	s_xor_b32 s40, s31, 0x80000000
	s_cmp_eq_f32 s19, 1.0
	s_fmac_f32 s40, s34, s1
	s_sub_f32 s23, s23, s35
	s_delay_alu instid0(SALU_CYCLE_2) | instskip(SKIP_1) | instid1(SALU_CYCLE_1)
	s_fmac_f32 s40, s37, s1
	s_add_f32 s1, s33, 0x31739010
	v_mov_b64_e32 v[4:5], s[22:23]
	s_delay_alu instid0(SALU_CYCLE_1) | instskip(NEXT) | instid1(SALU_CYCLE_1)
	s_add_f32 s33, s31, s40
	v_mov_b64_e32 v[0:1], s[0:1]
	s_delay_alu instid0(SALU_CYCLE_2) | instskip(SKIP_1) | instid1(SALU_CYCLE_2)
	s_sub_f32 s1, s33, s31
	s_add_f32 s41, s33, 0x3f2aaaaa
	s_sub_f32 s1, s40, s1
	s_delay_alu instid0(SALU_CYCLE_2) | instskip(NEXT) | instid1(VALU_DEP_1)
	s_add_f32 s23, s41, 0xbf2aaaaa
	v_pk_mul_f32 v[6:7], v[0:1], v[4:5]
	v_pk_add_f32 v[0:1], v[0:1], v[4:5]
	s_add_f32 s31, s1, 0x31739010
	s_sub_f32 s35, s33, s23
	v_mul_f32_e32 v0, 0x3f317218, v23
	v_xor_b32_e32 v12, 0x80000000, v6
	v_mov_b64_e32 v[8:9], s[30:31]
	v_mov_b64_e32 v[10:11], s[34:35]
	v_mov_b32_e32 v7, v1
	v_xor_b32_e32 v16, 0x80000000, v0
	v_fmac_f32_e64 v12, s22, s0
	s_cselect_b32 s23, 1.0, 2.0
	s_cmp_eq_f32 s21, 1.0
	s_delay_alu instid0(VALU_DEP_4) | instskip(NEXT) | instid1(VALU_DEP_2)
	v_pk_mul_f32 v[14:15], v[8:9], v[10:11]
	v_fmac_f32_e64 v12, s22, s29
	v_pk_add_f32 v[8:9], v[8:9], v[10:11]
	v_mov_b32_e32 v5, s41
	s_cselect_b32 s22, 1.0, 2.0
	v_xor_b32_e32 v4, 0x80000000, v14
	v_fmac_f32_e64 v12, s39, s0
	v_mov_b32_e32 v15, v9
	s_delay_alu instid0(VALU_DEP_3) | instskip(NEXT) | instid1(VALU_DEP_3)
	v_fmac_f32_e64 v4, s34, s30
	v_pk_add_f32 v[10:11], v[6:7], v[12:13]
	v_fmac_f32_e32 v16, 0x3f317218, v23
	s_delay_alu instid0(VALU_DEP_3) | instskip(NEXT) | instid1(VALU_DEP_3)
	v_fmac_f32_e64 v4, s34, s36
	v_dual_mov_b32 v8, v11 :: v_dual_sub_f32 v13, v10, v6
	s_delay_alu instid0(VALU_DEP_3) | instskip(NEXT) | instid1(VALU_DEP_3)
	v_fmac_f32_e32 v16, 0xb102e308, v23
	v_fmac_f32_e64 v4, s37, s30
	s_delay_alu instid0(VALU_DEP_1) | instskip(SKIP_2) | instid1(VALU_DEP_2)
	v_pk_add_f32 v[18:19], v[14:15], v[4:5]
	v_sub_f32_e32 v5, s38, v11
	v_pk_mul_f32 v[20:21], v[10:11], v[8:9]
	v_dual_mov_b32 v8, v19 :: v_dual_add_f32 v1, v1, v5
	s_delay_alu instid0(VALU_DEP_2) | instskip(SKIP_1) | instid1(VALU_DEP_3)
	v_xor_b32_e32 v22, 0x80000000, v20
	v_dual_sub_f32 v5, v12, v13 :: v_dual_sub_f32 v12, s41, v19
	v_pk_mul_f32 v[6:7], v[18:19], v[8:9]
	v_cvt_f32_i32_e32 v7, v17
	s_delay_alu instid0(VALU_DEP_4)
	v_fmac_f32_e32 v22, v10, v11
	v_ldexp_f32 v17, s0, 1
	v_add_f32_e32 v9, v9, v12
	v_xor_b32_e32 v8, 0x80000000, v6
	v_ldexp_f32 v13, s30, 1
	v_fmac_f32_e32 v22, v10, v1
	v_dual_mul_f32 v10, 0x3f317218, v7 :: v_dual_sub_f32 v1, v18, v14
	s_delay_alu instid0(VALU_DEP_4) | instskip(NEXT) | instid1(VALU_DEP_2)
	v_fmac_f32_e32 v8, v18, v19
	v_xor_b32_e32 v12, 0x80000000, v10
	s_delay_alu instid0(VALU_DEP_3) | instskip(NEXT) | instid1(VALU_DEP_3)
	v_dual_sub_f32 v4, v4, v1 :: v_dual_fmac_f32 v22, v5, v11
	v_dual_fmac_f32 v8, v18, v9 :: v_dual_mov_b32 v21, v17
	s_delay_alu instid0(VALU_DEP_2) | instskip(NEXT) | instid1(VALU_DEP_2)
	v_dual_fmac_f32 v12, 0x3f317218, v7 :: v_dual_add_f32 v1, v20, v22
	v_fmac_f32_e32 v8, v4, v19
	s_delay_alu instid0(VALU_DEP_2) | instskip(NEXT) | instid1(VALU_DEP_2)
	v_pk_add_f32 v[4:5], v[0:1], v[16:17]
	v_dual_mov_b32 v14, v1 :: v_dual_add_f32 v11, v6, v8
	s_delay_alu instid0(VALU_DEP_4) | instskip(NEXT) | instid1(VALU_DEP_3)
	v_dual_fmac_f32 v12, 0xb102e308, v7 :: v_dual_mov_b32 v23, v1
	v_dual_mov_b32 v7, v13 :: v_dual_mov_b32 v15, v5
	v_ldexp_f32 v1, s29, 1
	s_delay_alu instid0(VALU_DEP_3) | instskip(SKIP_1) | instid1(VALU_DEP_4)
	v_pk_add_f32 v[18:19], v[10:11], v[12:13]
	v_mov_b32_e32 v28, v5
	v_pk_add_f32 v[14:15], v[14:15], v[20:21] neg_lo:[0,1] neg_hi:[0,1]
	s_delay_alu instid0(VALU_DEP_3) | instskip(NEXT) | instid1(VALU_DEP_4)
	v_dual_mov_b32 v20, v11 :: v_dual_mov_b32 v21, v19
	v_mov_b32_e32 v13, v18
	s_delay_alu instid0(VALU_DEP_3) | instskip(SKIP_1) | instid1(VALU_DEP_4)
	v_pk_add_f32 v[14:15], v[22:23], v[14:15] neg_lo:[0,1] neg_hi:[0,1]
	v_mov_b32_e32 v9, v11
	v_pk_add_f32 v[6:7], v[20:21], v[6:7] neg_lo:[0,1] neg_hi:[0,1]
	v_ldexp_f32 v11, s36, 1
	s_delay_alu instid0(VALU_DEP_4) | instskip(NEXT) | instid1(VALU_DEP_3)
	v_add_f32_e32 v1, v1, v14
	v_pk_add_f32 v[6:7], v[8:9], v[6:7] neg_lo:[0,1] neg_hi:[0,1]
	s_delay_alu instid0(VALU_DEP_1) | instskip(SKIP_1) | instid1(VALU_DEP_2)
	v_dual_add_f32 v1, v1, v15 :: v_dual_add_f32 v6, v11, v6
	v_mov_b32_e32 v17, v4
	v_pk_add_f32 v[8:9], v[4:5], v[0:1]
	v_pk_add_f32 v[14:15], v[4:5], v[0:1] neg_lo:[0,1] neg_hi:[0,1]
	s_delay_alu instid0(VALU_DEP_2) | instskip(NEXT) | instid1(VALU_DEP_1)
	v_dual_add_f32 v11, v6, v7 :: v_dual_mov_b32 v15, v9
	v_pk_add_f32 v[6:7], v[18:19], v[10:11]
	v_pk_add_f32 v[22:23], v[18:19], v[10:11] neg_lo:[0,1] neg_hi:[0,1]
	s_delay_alu instid0(VALU_DEP_3) | instskip(SKIP_1) | instid1(VALU_DEP_2)
	v_pk_add_f32 v[20:21], v[16:17], v[14:15]
	v_pk_add_f32 v[14:15], v[16:17], v[14:15] neg_lo:[0,1] neg_hi:[0,1]
	v_dual_mov_b32 v23, v7 :: v_dual_mov_b32 v0, v21
	s_delay_alu instid0(VALU_DEP_1) | instskip(SKIP_1) | instid1(VALU_DEP_3)
	v_pk_add_f32 v[24:25], v[12:13], v[22:23]
	v_dual_mov_b32 v20, v9 :: v_dual_mov_b32 v15, v21
	v_pk_add_f32 v[26:27], v[0:1], v[4:5] neg_lo:[0,1] neg_hi:[0,1]
	s_delay_alu instid0(VALU_DEP_3) | instskip(NEXT) | instid1(VALU_DEP_2)
	v_dual_mov_b32 v5, v4 :: v_dual_mov_b32 v0, v25
	v_dual_mov_b32 v4, v1 :: v_dual_mov_b32 v27, v26
	v_mov_b32_e32 v29, v26
	s_delay_alu instid0(VALU_DEP_3) | instskip(SKIP_1) | instid1(VALU_DEP_4)
	v_pk_add_f32 v[0:1], v[0:1], v[18:19] neg_lo:[0,1] neg_hi:[0,1]
	v_mov_b32_e32 v24, v7
	v_pk_add_f32 v[8:9], v[8:9], v[26:27] neg_lo:[0,1] neg_hi:[0,1]
	s_delay_alu instid0(VALU_DEP_4) | instskip(NEXT) | instid1(VALU_DEP_4)
	v_pk_add_f32 v[16:17], v[20:21], v[28:29] neg_lo:[0,1] neg_hi:[0,1]
	v_dual_mov_b32 v26, v19 :: v_dual_mov_b32 v27, v0
	v_dual_mov_b32 v1, v0 :: v_dual_mov_b32 v8, v14
	;; [unrolled: 1-line block ×3, first 2 shown]
	v_pk_add_f32 v[10:11], v[12:13], v[22:23] neg_lo:[0,1] neg_hi:[0,1]
	s_delay_alu instid0(VALU_DEP_4) | instskip(SKIP_3) | instid1(VALU_DEP_4)
	v_pk_add_f32 v[12:13], v[24:25], v[26:27] neg_lo:[0,1] neg_hi:[0,1]
	v_pk_add_f32 v[4:5], v[4:5], v[16:17] neg_lo:[0,1] neg_hi:[0,1]
	;; [unrolled: 1-line block ×3, first 2 shown]
	v_dual_mov_b32 v11, v25 :: v_dual_mov_b32 v20, v25
	v_pk_add_f32 v[6:7], v[18:19], v[12:13] neg_lo:[0,1] neg_hi:[0,1]
	s_delay_alu instid0(VALU_DEP_4) | instskip(NEXT) | instid1(VALU_DEP_1)
	v_pk_add_f32 v[8:9], v[8:9], v[4:5]
	v_dual_mov_b32 v0, v10 :: v_dual_mov_b32 v13, v8
	s_delay_alu instid0(VALU_DEP_1) | instskip(NEXT) | instid1(VALU_DEP_1)
	v_pk_add_f32 v[0:1], v[0:1], v[6:7]
	v_dual_mov_b32 v17, v9 :: v_dual_mov_b32 v12, v0
	s_delay_alu instid0(VALU_DEP_2) | instskip(NEXT) | instid1(VALU_DEP_1)
	v_mov_b32_e32 v16, v1
	v_pk_add_f32 v[16:17], v[12:13], v[16:17]
	s_delay_alu instid0(VALU_DEP_1) | instskip(SKIP_1) | instid1(VALU_DEP_2)
	v_pk_add_f32 v[18:19], v[20:21], v[16:17]
	v_dual_mov_b32 v5, v17 :: v_dual_mov_b32 v7, v16
	v_dual_mov_b32 v1, v18 :: v_dual_mov_b32 v9, v19
	s_delay_alu instid0(VALU_DEP_1) | instskip(NEXT) | instid1(VALU_DEP_2)
	v_pk_add_f32 v[0:1], v[0:1], v[10:11] neg_lo:[0,1] neg_hi:[0,1]
	v_pk_add_f32 v[8:9], v[8:9], v[14:15] neg_lo:[0,1] neg_hi:[0,1]
	s_delay_alu instid0(VALU_DEP_1) | instskip(NEXT) | instid1(VALU_DEP_3)
	v_dual_mov_b32 v16, v0 :: v_dual_mov_b32 v17, v8
	v_pk_add_f32 v[0:1], v[6:7], v[0:1] neg_lo:[0,1] neg_hi:[0,1]
	v_mov_b32_e32 v11, v14
	s_delay_alu instid0(VALU_DEP_4) | instskip(NEXT) | instid1(VALU_DEP_4)
	v_pk_add_f32 v[4:5], v[4:5], v[8:9] neg_lo:[0,1] neg_hi:[0,1]
	v_pk_add_f32 v[6:7], v[12:13], v[16:17] neg_lo:[0,1] neg_hi:[0,1]
	s_delay_alu instid0(VALU_DEP_2) | instskip(SKIP_1) | instid1(VALU_DEP_3)
	v_dual_mov_b32 v8, v0 :: v_dual_mov_b32 v9, v4
	v_mov_b32_e32 v4, v1
	v_pk_add_f32 v[6:7], v[10:11], v[6:7] neg_lo:[0,1] neg_hi:[0,1]
	s_delay_alu instid0(VALU_DEP_1) | instskip(SKIP_1) | instid1(VALU_DEP_2)
	v_pk_add_f32 v[0:1], v[8:9], v[6:7]
	v_mov_b64_e32 v[6:7], s[22:23]
	v_pk_add_f32 v[0:1], v[0:1], v[4:5]
	s_delay_alu instid0(VALU_DEP_1) | instskip(NEXT) | instid1(VALU_DEP_1)
	v_pk_add_f32 v[4:5], v[18:19], v[0:1]
	v_pk_add_f32 v[8:9], v[4:5], v[18:19] neg_lo:[0,1] neg_hi:[0,1]
	s_delay_alu instid0(VALU_DEP_4) | instskip(NEXT) | instid1(VALU_DEP_2)
	v_pk_mul_f32 v[10:11], v[6:7], v[4:5]
	v_pk_add_f32 v[0:1], v[0:1], v[8:9] neg_lo:[0,1] neg_hi:[0,1]
	s_delay_alu instid0(VALU_DEP_2) | instskip(SKIP_1) | instid1(VALU_DEP_2)
	v_pk_fma_f32 v[4:5], v[6:7], v[4:5], v[10:11] neg_lo:[0,0,1] neg_hi:[0,0,1]
	v_readfirstlane_b32 s0, v10
	v_pk_fma_f32 v[0:1], v[6:7], v[0:1], v[4:5]
	s_delay_alu instid0(VALU_DEP_2) | instskip(NEXT) | instid1(VALU_DEP_2)
	v_cmp_class_f32_e64 s1, s0, 0x204
	v_pk_add_f32 v[4:5], v[10:11], v[0:1]
	s_and_b32 s1, s1, exec_lo
	s_delay_alu instid0(VALU_DEP_1) | instskip(NEXT) | instid1(VALU_DEP_2)
	v_readfirstlane_b32 s29, v4
	v_pk_add_f32 v[6:7], v[4:5], v[10:11] neg_lo:[0,1] neg_hi:[0,1]
	s_cselect_b32 s0, s0, s29
	s_delay_alu instid0(VALU_DEP_1) | instskip(SKIP_1) | instid1(SALU_CYCLE_1)
	v_pk_add_f32 v[0:1], v[0:1], v[6:7] neg_lo:[0,1] neg_hi:[0,1]
	s_and_b32 s1, s0, 0x7fffffff
	s_cmp_neq_f32 s1, 0x7f800000
	s_cselect_b32 vcc_lo, -1, 0
	s_cmp_eq_f32 s0, 0x42b17218
	v_cndmask_b32_e32 v0, 0, v0, vcc_lo
	s_cselect_b32 s1, 0x37000000, 0
	s_delay_alu instid0(SALU_CYCLE_1) | instskip(NEXT) | instid1(VALU_DEP_1)
	s_sub_f32 s29, s0, s1
	v_add_f32_e32 v0, s1, v0
	s_delay_alu instid0(SALU_CYCLE_2) | instskip(NEXT) | instid1(SALU_CYCLE_3)
	s_mul_f32 s0, s29, 0x3fb8aa3b
	s_xor_b32 s30, s0, 0x80000000
	s_rndne_f32 s31, s0
	s_fmamk_f32 s30, s29, 0x3fb8aa3b, s30
	s_cmp_nlt_f32 s29, 0xc2ce8ed0
	s_delay_alu instid0(SALU_CYCLE_1) | instskip(NEXT) | instid1(SALU_CYCLE_1)
	s_sub_f32 s0, s0, s31
	s_fmamk_f32 s30, s29, 0x32a5705f, s30
	s_delay_alu instid0(SALU_CYCLE_3) | instskip(SKIP_2) | instid1(SALU_CYCLE_1)
	s_add_f32 s0, s0, s30
	s_cvt_i32_f32 s30, s31
	s_trunc_f32 s31, s22
	v_s_exp_f32 s0, s0
	v_nop
	s_delay_alu instid0(TRANS32_DEP_1)
	v_ldexp_f32 v4, s0, s30
	s_cselect_b32 s0, -1, 0
	s_cmp_ngt_f32 s29, 0x42b17218
	s_mul_f32 s29, s22, 0.5
	v_readfirstlane_b32 s30, v5
	v_cndmask_b32_e64 v4, 0, v4, s0
	s_cselect_b32 vcc_lo, -1, 0
	s_cmp_eq_f32 s31, s22
	s_trunc_f32 s0, s29
	s_delay_alu instid0(VALU_DEP_1) | instskip(SKIP_1) | instid1(SALU_CYCLE_1)
	v_cndmask_b32_e32 v4, 0x7f800000, v4, vcc_lo
	s_cselect_b32 s1, -1, 0
	s_cmp_neq_f32 s0, s29
	v_readfirstlane_b32 s29, v11
	s_delay_alu instid0(VALU_DEP_2) | instskip(SKIP_2) | instid1(SALU_CYCLE_1)
	v_fma_f32 v0, v4, v0, v4
	v_cmp_class_f32_e64 vcc_lo, v4, 0x204
	s_cselect_b32 s0, -1, 0
	s_and_b32 s1, s1, s0
	v_cndmask_b32_e32 v0, v0, v4, vcc_lo
	s_and_b32 s0, s1, exec_lo
	s_cselect_b32 s0, s21, 1.0
	s_cmp_eq_f32 s31, s22
	s_delay_alu instid0(VALU_DEP_1) | instskip(SKIP_2) | instid1(SALU_CYCLE_1)
	v_bfi_b32 v0, 0x7fffffff, v0, s0
	v_cmp_class_f32_e64 s0, s29, 0x204
	s_cselect_b32 s31, -1, 0
	s_and_b32 s31, s31, exec_lo
	v_readfirstlane_b32 s22, v0
	s_cselect_b32 s31, s22, 0x7fc00000
	s_and_b32 s0, s0, exec_lo
	s_cselect_b32 s0, s29, s30
	s_delay_alu instid0(SALU_CYCLE_1) | instskip(NEXT) | instid1(SALU_CYCLE_1)
	s_and_b32 s29, s0, 0x7fffffff
	s_cmp_neq_f32 s29, 0x7f800000
	s_cselect_b32 vcc_lo, -1, 0
	s_cmp_eq_f32 s0, 0x42b17218
	v_cndmask_b32_e32 v1, 0, v1, vcc_lo
	s_cselect_b32 s29, 0x37000000, 0
	s_delay_alu instid0(SALU_CYCLE_1) | instskip(NEXT) | instid1(VALU_DEP_1)
	s_sub_f32 s30, s0, s29
	v_add_f32_e32 v1, s29, v1
	s_delay_alu instid0(SALU_CYCLE_2) | instskip(NEXT) | instid1(SALU_CYCLE_3)
	s_mul_f32 s0, s30, 0x3fb8aa3b
	s_xor_b32 s33, s0, 0x80000000
	s_rndne_f32 s34, s0
	s_fmamk_f32 s33, s30, 0x3fb8aa3b, s33
	s_cmp_nlt_f32 s30, 0xc2ce8ed0
	s_delay_alu instid0(SALU_CYCLE_1) | instskip(NEXT) | instid1(SALU_CYCLE_1)
	s_sub_f32 s0, s0, s34
	s_fmamk_f32 s33, s30, 0x32a5705f, s33
	s_delay_alu instid0(SALU_CYCLE_3) | instskip(SKIP_2) | instid1(SALU_CYCLE_1)
	s_add_f32 s0, s0, s33
	s_cvt_i32_f32 s33, s34
	s_trunc_f32 s34, s23
	v_s_exp_f32 s0, s0
	v_nop
	s_delay_alu instid0(TRANS32_DEP_1) | instskip(SKIP_3) | instid1(VALU_DEP_1)
	v_ldexp_f32 v0, s0, s33
	s_cselect_b32 s0, -1, 0
	s_cmp_ngt_f32 s30, 0x42b17218
	s_mul_f32 s30, s23, 0.5
	v_cndmask_b32_e64 v0, 0, v0, s0
	s_cselect_b32 vcc_lo, -1, 0
	s_cmp_eq_f32 s34, s23
	s_trunc_f32 s0, s30
	s_delay_alu instid0(VALU_DEP_1) | instskip(SKIP_1) | instid1(SALU_CYCLE_1)
	v_cndmask_b32_e32 v0, 0x7f800000, v0, vcc_lo
	s_cselect_b32 s29, -1, 0
	s_cmp_neq_f32 s0, s30
	v_cmp_class_f32_e64 s30, s19, 0x204
	s_delay_alu instid0(VALU_DEP_2) | instskip(SKIP_2) | instid1(SALU_CYCLE_1)
	v_fma_f32 v1, v0, v1, v0
	v_cmp_class_f32_e64 vcc_lo, v0, 0x204
	s_cselect_b32 s0, -1, 0
	s_and_b32 s0, s29, s0
	v_cndmask_b32_e32 v0, v1, v0, vcc_lo
	s_and_b32 s29, s0, exec_lo
	s_cselect_b32 s29, s19, 1.0
	s_cmp_eq_f32 s34, s23
	v_mov_b32_e32 v1, s18
	v_bfi_b32 v0, 0x7fffffff, v0, s29
	s_cselect_b32 s29, -1, 0
	s_delay_alu instid0(SALU_CYCLE_1) | instskip(NEXT) | instid1(VALU_DEP_1)
	s_and_b32 s29, s29, exec_lo
	v_readfirstlane_b32 s23, v0
	s_cselect_b32 s29, s23, 0x7fc00000
	s_cmp_eq_f32 s19, 0
	s_cselect_b32 s33, -1, 0
	s_delay_alu instid0(SALU_CYCLE_1)
	s_and_b32 s34, s33, exec_lo
	s_cselect_b32 s34, 0, 0x7f800000
	s_or_b32 s30, s33, s30
	s_cmp_lt_f32 s19, 0
	s_cselect_b32 s23, s29, s23
	s_and_b32 s0, s0, exec_lo
	s_cselect_b32 s0, s19, 0
	s_and_b32 s29, s30, exec_lo
	v_mov_b32_e32 v0, s0
	s_delay_alu instid0(VALU_DEP_1) | instskip(NEXT) | instid1(VALU_DEP_1)
	v_bfi_b32 v0, 0x7fffffff, s34, v0
	v_readfirstlane_b32 s0, v0
	s_cselect_b32 s0, s0, s23
	s_cmp_o_f32 s19, s19
	s_cselect_b32 s0, s0, 0x7fc00000
	s_cmp_lt_f32 s21, 0
	s_cselect_b32 s19, s31, s22
	s_cmp_eq_f32 s21, 0
	v_cmp_class_f32_e64 s22, s21, 0x204
	s_cselect_b32 s23, -1, 0
	s_delay_alu instid0(SALU_CYCLE_1)
	s_and_b32 s29, s23, exec_lo
	s_cselect_b32 s29, 0, 0x7f800000
	s_or_b32 s22, s23, s22
	s_and_b32 s1, s1, exec_lo
	s_cselect_b32 s1, s21, 0
	s_and_b32 s22, s22, exec_lo
	v_mov_b32_e32 v0, s1
	s_delay_alu instid0(VALU_DEP_1) | instskip(NEXT) | instid1(VALU_DEP_1)
	v_bfi_b32 v0, 0x7fffffff, s29, v0
	v_readfirstlane_b32 s1, v0
	s_cselect_b32 s1, s1, s19
	s_cmp_o_f32 s21, s21
	s_mul_f32 s1, s1, 0x3e800000
	s_delay_alu instid0(SALU_CYCLE_3) | instskip(NEXT) | instid1(SALU_CYCLE_1)
	s_cselect_b32 s1, s1, 0x7fc00000
	s_add_f32 s0, s0, s1
	s_delay_alu instid0(SALU_CYCLE_3) | instskip(SKIP_1) | instid1(SALU_CYCLE_2)
	s_mul_f32 s1, s0, 0x4f800000
	s_cmp_lt_f32 s0, 0xf800000
	s_cselect_b32 s1, s1, s0
	s_delay_alu instid0(SALU_CYCLE_1) | instskip(SKIP_1) | instid1(TRANS32_DEP_1)
	v_s_sqrt_f32 s19, s1
	s_mov_b32 s22, s1
	s_add_co_i32 s21, s19, -1
	s_delay_alu instid0(SALU_CYCLE_1) | instskip(NEXT) | instid1(SALU_CYCLE_1)
	s_xor_b32 s23, s21, 0x80000000
	s_fmac_f32 s22, s23, s19
	s_mov_b32 s23, s1
	s_delay_alu instid0(SALU_CYCLE_2) | instskip(SKIP_2) | instid1(SALU_CYCLE_1)
	s_cmp_le_f32 s22, 0
	s_cselect_b32 s21, s21, s19
	s_add_co_i32 s22, s19, 1
	s_xor_b32 s29, s22, 0x80000000
	s_delay_alu instid0(SALU_CYCLE_1) | instskip(SKIP_1) | instid1(SALU_CYCLE_2)
	s_fmac_f32 s23, s29, s19
	v_cmp_class_f32_e64 s19, s1, 0x260
	s_cmp_gt_f32 s23, 0
	s_cselect_b32 s21, s22, s21
	s_cmp_lt_f32 s0, 0xf800000
	s_mul_f32 s0, s21, 0x37800000
	s_delay_alu instid0(SALU_CYCLE_3) | instskip(SKIP_2) | instid1(SALU_CYCLE_1)
	s_cselect_b32 s0, s0, s21
	s_and_b32 s19, s19, exec_lo
	s_cselect_b32 s0, s1, s0
	v_dual_mul_f32 v0, s0, v3 :: v_dual_mov_b32 v3, s20
	s_clause 0x1
	global_store_b32 v1, v0, s[4:5] scale_offset
	global_load_b32 v1, v3, s[4:5] offset:12 scale_offset
	s_wait_loadcnt 0x0
	v_cmp_nlt_f32_e32 vcc_lo, 0, v1
	s_cbranch_vccnz .LBB1_5
; %bb.7:                                ;   in Loop: Header=BB1_6 Depth=1
	s_ashr_i32 s19, s18, 31
	v_xor_b32_e32 v0, 0x80000000, v0
	s_lshl_b64 s[0:1], s[18:19], 2
	s_delay_alu instid0(SALU_CYCLE_1)
	s_add_nc_u64 s[0:1], s[4:5], s[0:1]
	global_store_b32 v2, v0, s[0:1]
	s_branch .LBB1_5
.LBB1_8:
	s_add_co_i32 s12, s2, -1
	s_delay_alu instid0(SALU_CYCLE_1) | instskip(SKIP_3) | instid1(SALU_CYCLE_1)
	s_cmp_lt_i32 s15, s12
	s_wait_xcnt 0x0
	s_cselect_b32 s0, -1, 0
	s_xor_b32 s1, s26, -1
	s_or_b32 s0, s0, s1
	s_delay_alu instid0(SALU_CYCLE_1)
	s_and_b32 vcc_lo, exec_lo, s0
	s_cbranch_vccnz .LBB1_11
; %bb.9:
	v_mov_b32_e32 v12, 0
	s_mul_i32 s0, s2, 24
	s_add_co_i32 s15, s3, -2
	s_add_nc_u64 s[8:9], s[10:11], 8
	s_add_co_i32 s18, s0, -9
	s_mov_b32 s19, 0x3e76c4e1
.LBB1_10:                               ; =>This Inner Loop Header: Depth=1
	s_add_co_i32 s0, s18, -11
	s_wait_xcnt 0x0
	v_mov_b32_e32 v0, s0
	global_load_b32 v13, v0, s[4:5] scale_offset
	s_wait_loadcnt 0x0
	v_cvt_f64_f32_e64 v[2:3], |v13|
	v_frexp_mant_f32_e64 v1, |v13|
	v_cmp_class_f32_e64 s21, v13, 0x204
	s_delay_alu instid0(VALU_DEP_2) | instskip(SKIP_2) | instid1(SALU_CYCLE_1)
	v_readfirstlane_b32 s0, v1
	s_cmp_lt_f32 s0, 0x3f2aaaab
	s_cselect_b32 vcc_lo, -1, 0
	s_and_b32 s1, vcc_lo, exec_lo
	s_cselect_b32 s1, 2.0, 1.0
	s_add_co_i32 s20, s18, -12
	s_mul_f32 s0, s0, s1
	s_delay_alu instid0(SALU_CYCLE_3) | instskip(SKIP_3) | instid1(SALU_CYCLE_3)
	s_add_f32 s22, s0, -1.0
	s_wait_xcnt 0x0
	v_mov_b32_e32 v0, s18
	s_add_f32 s1, s0, 1.0
	v_s_rcp_f32 s23, s1
	s_add_f32 s28, s1, -1.0
	v_frexp_exp_i32_f64_e32 v1, v[2:3]
	v_mov_b32_e32 v3, s22
	global_load_b32 v0, v0, s[4:5] scale_offset
	v_mov_b32_e32 v2, s20
	s_sub_f32 s0, s0, s28
	global_load_b32 v6, v2, s[4:5] scale_offset
	global_load_b32 v14, v12, s[8:9]
	s_mul_f32 s28, s22, s23
	v_readfirstlane_b32 s20, v13
	s_wait_xcnt 0x0
	s_add_nc_u64 s[8:9], s[8:9], 4
	s_mul_f32 s29, s1, s28
	s_delay_alu instid0(SALU_CYCLE_3) | instskip(NEXT) | instid1(SALU_CYCLE_1)
	s_xor_b32 s30, s29, 0x80000000
	s_fmac_f32 s30, s28, s1
	s_delay_alu instid0(SALU_CYCLE_3) | instskip(NEXT) | instid1(SALU_CYCLE_3)
	s_fmac_f32 s30, s28, s0
	v_dual_mov_b32 v4, s29 :: v_dual_mov_b32 v10, s30
	s_add_f32 s0, s29, s30
	s_delay_alu instid0(SALU_CYCLE_3) | instskip(SKIP_1) | instid1(SALU_CYCLE_2)
	s_sub_f32 s1, s22, s0
	v_subrev_co_ci_u32_e64 v1, null, 0, v1, vcc_lo
	v_dual_mov_b32 v2, s0 :: v_dual_mov_b32 v5, s1
	v_mov_b32_e32 v11, s0
	s_delay_alu instid0(VALU_DEP_3) | instskip(NEXT) | instid1(VALU_DEP_3)
	v_cvt_f32_i32_e32 v1, v1
	v_pk_add_f32 v[2:3], v[2:3], v[4:5] neg_lo:[0,1] neg_hi:[0,1]
	s_delay_alu instid0(VALU_DEP_1) | instskip(NEXT) | instid1(VALU_DEP_1)
	v_pk_add_f32 v[2:3], v[2:3], v[10:11] neg_lo:[0,1] neg_hi:[0,1]
	v_readfirstlane_b32 s0, v3
	s_delay_alu instid0(VALU_DEP_2) | instskip(SKIP_1) | instid1(SALU_CYCLE_3)
	v_readfirstlane_b32 s22, v2
	s_add_f32 s0, s22, s0
	s_add_f32 s0, s1, s0
	s_delay_alu instid0(SALU_CYCLE_3) | instskip(NEXT) | instid1(SALU_CYCLE_3)
	s_mul_f32 s1, s23, s0
	s_add_f32 s0, s28, s1
	s_delay_alu instid0(SALU_CYCLE_3) | instskip(SKIP_2) | instid1(SALU_CYCLE_1)
	s_sub_f32 s22, s0, s28
	s_mul_f32 s23, s0, s0
	v_ldexp_f32 v9, s0, 1
	s_sub_f32 s28, s1, s22
	s_delay_alu instid0(SALU_CYCLE_1) | instskip(NEXT) | instid1(SALU_CYCLE_1)
	s_xor_b32 s1, s23, 0x80000000
	s_fmac_f32 s1, s0, s0
	s_delay_alu instid0(SALU_CYCLE_1) | instskip(SKIP_1) | instid1(SALU_CYCLE_2)
	s_add_f32 s22, s28, s28
	v_ldexp_f32 v7, s28, 1
	s_fmac_f32 s1, s0, s22
	s_delay_alu instid0(SALU_CYCLE_3) | instskip(NEXT) | instid1(SALU_CYCLE_3)
	s_add_f32 s22, s23, s1
	s_fmaak_f32 s29, s22, s19, 0x3e91f4c4
	s_sub_f32 s23, s22, s23
	s_delay_alu instid0(SALU_CYCLE_2) | instskip(NEXT) | instid1(SALU_CYCLE_2)
	s_fmaak_f32 s29, s22, s29, 0x3ecccdef
	s_sub_f32 s30, s1, s23
	s_delay_alu instid0(SALU_CYCLE_2) | instskip(NEXT) | instid1(SALU_CYCLE_3)
	s_mul_f32 s1, s22, s29
	s_xor_b32 s23, s1, 0x80000000
	s_delay_alu instid0(SALU_CYCLE_1) | instskip(NEXT) | instid1(SALU_CYCLE_3)
	s_fmac_f32 s23, s22, s29
	s_fmac_f32 s23, s30, s29
	s_delay_alu instid0(SALU_CYCLE_3) | instskip(NEXT) | instid1(SALU_CYCLE_3)
	s_add_f32 s29, s1, s23
	s_sub_f32 s1, s29, s1
	s_add_f32 s31, s29, 0x3f2aaaaa
	s_delay_alu instid0(SALU_CYCLE_2) | instskip(NEXT) | instid1(SALU_CYCLE_2)
	s_sub_f32 s1, s23, s1
	s_add_f32 s23, s31, 0xbf2aaaaa
	v_mov_b32_e32 v3, s31
	s_delay_alu instid0(SALU_CYCLE_1) | instskip(NEXT) | instid1(SALU_CYCLE_1)
	s_add_f32 s1, s1, 0x31739010
	s_sub_f32 s23, s29, s23
	s_delay_alu instid0(SALU_CYCLE_2) | instskip(NEXT) | instid1(SALU_CYCLE_2)
	v_mov_b64_e32 v[4:5], s[0:1]
	v_mov_b64_e32 v[10:11], s[22:23]
	s_delay_alu instid0(VALU_DEP_1) | instskip(SKIP_1) | instid1(VALU_DEP_2)
	v_pk_mul_f32 v[16:17], v[4:5], v[10:11]
	v_pk_add_f32 v[4:5], v[4:5], v[10:11]
	v_xor_b32_e32 v2, 0x80000000, v16
	s_delay_alu instid0(VALU_DEP_2) | instskip(NEXT) | instid1(VALU_DEP_2)
	v_mov_b32_e32 v17, v5
	v_fmac_f32_e64 v2, s22, s0
	s_delay_alu instid0(VALU_DEP_1) | instskip(NEXT) | instid1(VALU_DEP_1)
	v_fmac_f32_e64 v2, s22, s28
	v_fmac_f32_e64 v2, s30, s0
	s_delay_alu instid0(VALU_DEP_1) | instskip(NEXT) | instid1(VALU_DEP_1)
	v_pk_add_f32 v[10:11], v[16:17], v[2:3]
	v_mov_b32_e32 v4, v11
	s_wait_loadcnt 0x2
	v_readfirstlane_b32 s26, v0
	v_mul_f32_e32 v0, 0x3f317218, v1
	s_wait_loadcnt 0x1
	v_readfirstlane_b32 s0, v6
	s_delay_alu instid0(VALU_DEP_2) | instskip(SKIP_1) | instid1(VALU_DEP_1)
	v_xor_b32_e32 v8, 0x80000000, v0
	s_add_f32 s22, s26, s0
	v_fmac_f32_e32 v8, 0x3f317218, v1
	s_delay_alu instid0(SALU_CYCLE_2) | instskip(NEXT) | instid1(VALU_DEP_2)
	v_cmp_class_f32_e64 s23, s22, 0x204
	v_dual_fmac_f32 v8, 0xb102e308, v1 :: v_dual_sub_f32 v1, v10, v16
	v_sub_f32_e32 v3, s31, v11
	v_pk_mul_f32 v[16:17], v[10:11], v[4:5]
	s_delay_alu instid0(VALU_DEP_2) | instskip(NEXT) | instid1(VALU_DEP_2)
	v_dual_sub_f32 v1, v2, v1 :: v_dual_add_f32 v3, v5, v3
	v_xor_b32_e32 v2, 0x80000000, v16
	s_delay_alu instid0(VALU_DEP_1) | instskip(NEXT) | instid1(VALU_DEP_1)
	v_dual_mov_b32 v17, v9 :: v_dual_fmac_f32 v2, v10, v11
	v_fmac_f32_e32 v2, v10, v3
	s_delay_alu instid0(VALU_DEP_1) | instskip(NEXT) | instid1(VALU_DEP_1)
	v_fmac_f32_e32 v2, v1, v11
	v_add_f32_e32 v1, v16, v2
	s_delay_alu instid0(VALU_DEP_1) | instskip(SKIP_1) | instid1(VALU_DEP_2)
	v_pk_add_f32 v[10:11], v[0:1], v[8:9]
	v_dual_mov_b32 v4, v1 :: v_dual_mov_b32 v3, v1
	v_dual_mov_b32 v5, v11 :: v_dual_mov_b32 v9, v10
	;; [unrolled: 1-line block ×3, first 2 shown]
	s_delay_alu instid0(VALU_DEP_2) | instskip(NEXT) | instid1(VALU_DEP_1)
	v_pk_add_f32 v[4:5], v[4:5], v[16:17] neg_lo:[0,1] neg_hi:[0,1]
	v_pk_add_f32 v[2:3], v[2:3], v[4:5] neg_lo:[0,1] neg_hi:[0,1]
	s_delay_alu instid0(VALU_DEP_1) | instskip(NEXT) | instid1(VALU_DEP_1)
	v_add_f32_e32 v1, v7, v2
	v_add_f32_e32 v1, v1, v3
	s_delay_alu instid0(VALU_DEP_1) | instskip(SKIP_1) | instid1(VALU_DEP_2)
	v_pk_add_f32 v[2:3], v[10:11], v[0:1]
	v_pk_add_f32 v[16:17], v[10:11], v[0:1] neg_lo:[0,1] neg_hi:[0,1]
	v_dual_mov_b32 v17, v3 :: v_dual_mov_b32 v20, v1
	s_delay_alu instid0(VALU_DEP_1) | instskip(SKIP_2) | instid1(VALU_DEP_3)
	v_pk_add_f32 v[4:5], v[8:9], v[16:17]
	v_pk_add_f32 v[0:1], v[8:9], v[16:17] neg_lo:[0,1] neg_hi:[0,1]
	v_cvt_f64_f32_e64 v[16:17], |s22|
	v_dual_mov_b32 v4, v3 :: v_dual_mov_b32 v8, v5
	s_delay_alu instid0(VALU_DEP_1) | instskip(NEXT) | instid1(VALU_DEP_1)
	v_pk_add_f32 v[8:9], v[8:9], v[10:11] neg_lo:[0,1] neg_hi:[0,1]
	v_dual_mov_b32 v1, v5 :: v_dual_mov_b32 v19, v8
	v_mov_b32_e32 v7, v8
	s_delay_alu instid0(VALU_DEP_2) | instskip(NEXT) | instid1(VALU_DEP_2)
	v_pk_add_f32 v[8:9], v[4:5], v[18:19] neg_lo:[0,1] neg_hi:[0,1]
	v_pk_add_f32 v[10:11], v[2:3], v[6:7] neg_lo:[0,1] neg_hi:[0,1]
	v_mov_b32_e32 v10, v0
	s_delay_alu instid0(VALU_DEP_3) | instskip(NEXT) | instid1(VALU_DEP_1)
	v_pk_add_f32 v[2:3], v[20:21], v[8:9] neg_lo:[0,1] neg_hi:[0,1]
	v_pk_add_f32 v[8:9], v[10:11], v[2:3]
	v_frexp_mant_f32_e64 v3, |s22|
	s_delay_alu instid0(VALU_DEP_2) | instskip(NEXT) | instid1(VALU_DEP_2)
	v_dual_mov_b32 v7, v8 :: v_dual_mov_b32 v11, v9
	v_readfirstlane_b32 s0, v3
	v_frexp_exp_i32_f64_e32 v3, v[16:17]
	s_cmp_lt_f32 s0, 0x3f2aaaab
	s_cselect_b32 vcc_lo, -1, 0
	s_delay_alu instid0(SALU_CYCLE_1) | instskip(SKIP_1) | instid1(SALU_CYCLE_1)
	s_and_b32 s1, vcc_lo, exec_lo
	s_cselect_b32 s1, 2.0, 1.0
	s_mul_f32 s0, s0, s1
	s_delay_alu instid0(SALU_CYCLE_3) | instskip(SKIP_1) | instid1(SALU_CYCLE_2)
	s_add_f32 s1, s0, 1.0
	s_add_f32 s26, s0, -1.0
	v_s_rcp_f32 s28, s1
	s_add_f32 s29, s1, -1.0
	s_delay_alu instid0(SALU_CYCLE_1) | instskip(NEXT) | instid1(SALU_CYCLE_2)
	v_mov_b32_e32 v19, s26
	s_sub_f32 s0, s0, s29
	s_delay_alu instid0(TRANS32_DEP_1) | instskip(NEXT) | instid1(VALU_DEP_2)
	s_mul_f32 s29, s26, s28
	v_subrev_co_ci_u32_e64 v3, null, 0, v3, vcc_lo
	s_delay_alu instid0(SALU_CYCLE_2) | instskip(SKIP_1) | instid1(SALU_CYCLE_2)
	s_mul_f32 s30, s1, s29
	v_cvt_f32_i32_e32 v3, v3
	s_xor_b32 s31, s30, 0x80000000
	s_delay_alu instid0(SALU_CYCLE_1) | instskip(NEXT) | instid1(VALU_DEP_1)
	s_fmac_f32 s31, s29, s1
	v_mul_f32_e32 v16, 0x3f317218, v3
	s_delay_alu instid0(SALU_CYCLE_2) | instskip(SKIP_1) | instid1(VALU_DEP_2)
	s_fmac_f32 s31, s29, s0
	v_mov_b32_e32 v22, s30
	v_xor_b32_e32 v20, 0x80000000, v16
	s_delay_alu instid0(SALU_CYCLE_1) | instskip(SKIP_1) | instid1(SALU_CYCLE_2)
	s_add_f32 s0, s30, s31
	v_mov_b32_e32 v24, s31
	s_sub_f32 s1, s26, s0
	s_delay_alu instid0(VALU_DEP_2)
	v_fmac_f32_e32 v20, 0x3f317218, v3
	v_dual_mov_b32 v18, s0 :: v_dual_mov_b32 v25, s0
	s_delay_alu instid0(VALU_DEP_2) | instid1(SALU_CYCLE_1)
	v_dual_mov_b32 v23, s1 :: v_dual_fmac_f32 v20, 0xb102e308, v3
	s_delay_alu instid0(VALU_DEP_1) | instskip(NEXT) | instid1(VALU_DEP_1)
	v_pk_add_f32 v[18:19], v[18:19], v[22:23] neg_lo:[0,1] neg_hi:[0,1]
	v_pk_add_f32 v[18:19], v[18:19], v[24:25] neg_lo:[0,1] neg_hi:[0,1]
	s_delay_alu instid0(VALU_DEP_1) | instskip(NEXT) | instid1(VALU_DEP_2)
	v_readfirstlane_b32 s0, v19
	v_readfirstlane_b32 s26, v18
	s_add_f32 s0, s26, s0
	s_delay_alu instid0(SALU_CYCLE_3) | instskip(NEXT) | instid1(SALU_CYCLE_3)
	s_add_f32 s0, s1, s0
	s_mul_f32 s0, s28, s0
	s_delay_alu instid0(SALU_CYCLE_3) | instskip(NEXT) | instid1(SALU_CYCLE_3)
	s_add_f32 s28, s29, s0
	s_sub_f32 s1, s28, s29
	s_mul_f32 s26, s28, s28
	v_ldexp_f32 v21, s28, 1
	s_delay_alu instid0(SALU_CYCLE_1) | instskip(NEXT) | instid1(SALU_CYCLE_1)
	s_sub_f32 s33, s0, s1
	s_xor_b32 s0, s26, 0x80000000
	s_delay_alu instid0(SALU_CYCLE_1) | instskip(NEXT) | instid1(SALU_CYCLE_1)
	s_fmac_f32 s0, s28, s28
	s_add_f32 s1, s33, s33
	v_ldexp_f32 v3, s33, 1
	s_delay_alu instid0(SALU_CYCLE_2) | instskip(NEXT) | instid1(SALU_CYCLE_3)
	s_fmac_f32 s0, s28, s1
	s_add_f32 s30, s26, s0
	s_delay_alu instid0(SALU_CYCLE_3) | instskip(SKIP_1) | instid1(SALU_CYCLE_2)
	s_fmaak_f32 s1, s30, s19, 0x3e91f4c4
	s_sub_f32 s26, s30, s26
	s_fmaak_f32 s1, s30, s1, 0x3ecccdef
	s_delay_alu instid0(SALU_CYCLE_2) | instskip(NEXT) | instid1(SALU_CYCLE_2)
	s_sub_f32 s26, s0, s26
	s_mul_f32 s29, s30, s1
	s_delay_alu instid0(SALU_CYCLE_3) | instskip(SKIP_4) | instid1(SALU_CYCLE_1)
	s_xor_b32 s31, s29, 0x80000000
	s_cmp_eq_f32 s22, 1.0
	s_fmac_f32 s31, s30, s1
	s_cselect_b32 s0, 1.0, 2.0
	s_cmp_eq_f32 s20, 1.0
	s_fmac_f32 s31, s26, s1
	s_trunc_f32 s34, s0
	s_mul_f32 s35, s0, 0.5
	s_cselect_b32 s1, 1.0, 2.0
	s_add_f32 s36, s29, s31
	v_mov_b64_e32 v[18:19], s[0:1]
	s_trunc_f32 s37, s35
	s_trunc_f32 s38, s1
	s_mul_f32 s39, s1, 0.5
	s_sub_f32 s29, s36, s29
	s_add_f32 s40, s36, 0x3f2aaaaa
	s_delay_alu instid0(SALU_CYCLE_1) | instskip(NEXT) | instid1(SALU_CYCLE_1)
	s_trunc_f32 s41, s39
	s_sub_f32 s29, s31, s29
	s_delay_alu instid0(SALU_CYCLE_1) | instskip(SKIP_1) | instid1(SALU_CYCLE_1)
	s_add_f32 s31, s40, 0xbf2aaaaa
	v_mov_b32_e32 v23, s40
	s_add_f32 s29, s29, 0x31739010
	s_delay_alu instid0(SALU_CYCLE_1) | instskip(NEXT) | instid1(SALU_CYCLE_2)
	s_sub_f32 s31, s36, s31
	v_mov_b64_e32 v[24:25], s[28:29]
	s_delay_alu instid0(SALU_CYCLE_2) | instskip(NEXT) | instid1(VALU_DEP_1)
	v_mov_b64_e32 v[26:27], s[30:31]
	v_pk_mul_f32 v[28:29], v[24:25], v[26:27]
	v_pk_add_f32 v[24:25], v[24:25], v[26:27]
	s_delay_alu instid0(VALU_DEP_2) | instskip(NEXT) | instid1(VALU_DEP_2)
	v_xor_b32_e32 v22, 0x80000000, v28
	v_mov_b32_e32 v29, v25
	s_delay_alu instid0(VALU_DEP_2) | instskip(NEXT) | instid1(VALU_DEP_1)
	v_fmac_f32_e64 v22, s30, s28
	v_fmac_f32_e64 v22, s30, s33
	s_delay_alu instid0(VALU_DEP_1) | instskip(NEXT) | instid1(VALU_DEP_1)
	v_fmac_f32_e64 v22, s26, s28
	v_pk_add_f32 v[26:27], v[28:29], v[22:23]
	s_delay_alu instid0(VALU_DEP_1) | instskip(SKIP_1) | instid1(VALU_DEP_2)
	v_dual_mov_b32 v4, v27 :: v_dual_sub_f32 v6, v26, v28
	v_sub_f32_e32 v9, s40, v27
	v_pk_mul_f32 v[28:29], v[26:27], v[4:5]
	s_delay_alu instid0(VALU_DEP_2) | instskip(NEXT) | instid1(VALU_DEP_2)
	v_dual_sub_f32 v4, v22, v6 :: v_dual_add_f32 v6, v25, v9
	v_xor_b32_e32 v22, 0x80000000, v28
	s_delay_alu instid0(VALU_DEP_1) | instskip(NEXT) | instid1(VALU_DEP_1)
	v_dual_mov_b32 v29, v21 :: v_dual_fmac_f32 v22, v26, v27
	v_fmac_f32_e32 v22, v26, v6
	s_delay_alu instid0(VALU_DEP_1) | instskip(NEXT) | instid1(VALU_DEP_1)
	v_fmac_f32_e32 v22, v4, v27
	v_add_f32_e32 v17, v28, v22
	s_delay_alu instid0(VALU_DEP_1) | instskip(NEXT) | instid1(VALU_DEP_1)
	v_pk_add_f32 v[24:25], v[16:17], v[20:21]
	v_dual_mov_b32 v27, v25 :: v_dual_mov_b32 v26, v17
	s_delay_alu instid0(VALU_DEP_2) | instskip(SKIP_1) | instid1(VALU_DEP_3)
	v_dual_mov_b32 v23, v17 :: v_dual_mov_b32 v21, v24
	v_mov_b32_e32 v30, v25
	v_pk_add_f32 v[26:27], v[26:27], v[28:29] neg_lo:[0,1] neg_hi:[0,1]
	s_delay_alu instid0(VALU_DEP_1) | instskip(NEXT) | instid1(VALU_DEP_1)
	v_pk_add_f32 v[22:23], v[22:23], v[26:27] neg_lo:[0,1] neg_hi:[0,1]
	v_dual_mov_b32 v33, v24 :: v_dual_add_f32 v3, v3, v22
	s_delay_alu instid0(VALU_DEP_1) | instskip(NEXT) | instid1(VALU_DEP_1)
	v_add_f32_e32 v17, v3, v23
	v_pk_add_f32 v[22:23], v[24:25], v[16:17]
	v_pk_add_f32 v[26:27], v[24:25], v[16:17] neg_lo:[0,1] neg_hi:[0,1]
	s_delay_alu instid0(VALU_DEP_2) | instskip(NEXT) | instid1(VALU_DEP_1)
	v_dual_mov_b32 v32, v17 :: v_dual_mov_b32 v27, v23
	v_pk_add_f32 v[16:17], v[20:21], v[26:27]
	v_pk_add_f32 v[20:21], v[20:21], v[26:27] neg_lo:[0,1] neg_hi:[0,1]
	s_delay_alu instid0(VALU_DEP_2) | instskip(SKIP_1) | instid1(VALU_DEP_2)
	v_dual_mov_b32 v16, v23 :: v_dual_mov_b32 v6, v17
	v_dual_mov_b32 v21, v17 :: v_dual_mov_b32 v4, v17
	v_pk_add_f32 v[24:25], v[6:7], v[24:25] neg_lo:[0,1] neg_hi:[0,1]
	s_delay_alu instid0(VALU_DEP_1) | instskip(NEXT) | instid1(VALU_DEP_1)
	v_dual_mov_b32 v31, v24 :: v_dual_mov_b32 v3, v24
	v_pk_add_f32 v[16:17], v[16:17], v[30:31] neg_lo:[0,1] neg_hi:[0,1]
	s_delay_alu instid0(VALU_DEP_2) | instskip(SKIP_1) | instid1(VALU_DEP_3)
	v_pk_add_f32 v[22:23], v[22:23], v[2:3] neg_lo:[0,1] neg_hi:[0,1]
	v_mov_b32_e32 v22, v20
	v_pk_add_f32 v[16:17], v[32:33], v[16:17] neg_lo:[0,1] neg_hi:[0,1]
	s_delay_alu instid0(VALU_DEP_1) | instskip(NEXT) | instid1(VALU_DEP_1)
	v_pk_add_f32 v[22:23], v[22:23], v[16:17]
	v_dual_mov_b32 v6, v22 :: v_dual_mov_b32 v10, v23
	s_delay_alu instid0(VALU_DEP_1) | instskip(NEXT) | instid1(VALU_DEP_1)
	v_pk_add_f32 v[10:11], v[6:7], v[10:11]
	v_pk_add_f32 v[4:5], v[4:5], v[10:11]
	v_dual_mov_b32 v3, v11 :: v_dual_mov_b32 v17, v10
	s_delay_alu instid0(VALU_DEP_2) | instskip(NEXT) | instid1(VALU_DEP_1)
	v_dual_mov_b32 v23, v4 :: v_dual_mov_b32 v9, v5
	v_pk_add_f32 v[10:11], v[22:23], v[20:21] neg_lo:[0,1] neg_hi:[0,1]
	s_delay_alu instid0(VALU_DEP_2) | instskip(NEXT) | instid1(VALU_DEP_2)
	v_pk_add_f32 v[8:9], v[8:9], v[0:1] neg_lo:[0,1] neg_hi:[0,1]
	v_dual_mov_b32 v21, v0 :: v_dual_mov_b32 v0, v10
	s_delay_alu instid0(VALU_DEP_3) | instskip(NEXT) | instid1(VALU_DEP_3)
	v_pk_add_f32 v[10:11], v[16:17], v[10:11] neg_lo:[0,1] neg_hi:[0,1]
	v_mov_b32_e32 v1, v8
	s_delay_alu instid0(VALU_DEP_4) | instskip(NEXT) | instid1(VALU_DEP_2)
	v_pk_add_f32 v[2:3], v[2:3], v[8:9] neg_lo:[0,1] neg_hi:[0,1]
	v_pk_add_f32 v[0:1], v[6:7], v[0:1] neg_lo:[0,1] neg_hi:[0,1]
	s_delay_alu instid0(VALU_DEP_2) | instskip(SKIP_1) | instid1(VALU_DEP_3)
	v_dual_mov_b32 v6, v10 :: v_dual_mov_b32 v7, v2
	v_mov_b32_e32 v2, v11
	v_pk_add_f32 v[0:1], v[20:21], v[0:1] neg_lo:[0,1] neg_hi:[0,1]
	s_delay_alu instid0(VALU_DEP_1) | instskip(NEXT) | instid1(VALU_DEP_1)
	v_pk_add_f32 v[0:1], v[6:7], v[0:1]
	v_pk_add_f32 v[0:1], v[0:1], v[2:3]
	s_delay_alu instid0(VALU_DEP_1) | instskip(NEXT) | instid1(VALU_DEP_1)
	v_pk_add_f32 v[2:3], v[4:5], v[0:1]
	v_pk_add_f32 v[4:5], v[2:3], v[4:5] neg_lo:[0,1] neg_hi:[0,1]
	v_pk_mul_f32 v[6:7], v[18:19], v[2:3]
	s_delay_alu instid0(VALU_DEP_2) | instskip(NEXT) | instid1(VALU_DEP_2)
	v_pk_add_f32 v[0:1], v[0:1], v[4:5] neg_lo:[0,1] neg_hi:[0,1]
	v_pk_fma_f32 v[2:3], v[18:19], v[2:3], v[6:7] neg_lo:[0,0,1] neg_hi:[0,0,1]
	v_readfirstlane_b32 s26, v6
	v_readfirstlane_b32 s28, v7
	s_delay_alu instid0(VALU_DEP_3) | instskip(NEXT) | instid1(VALU_DEP_3)
	v_pk_fma_f32 v[0:1], v[18:19], v[0:1], v[2:3]
	v_cmp_class_f32_e64 s29, s26, 0x204
	s_delay_alu instid0(VALU_DEP_3) | instskip(NEXT) | instid1(VALU_DEP_3)
	v_cmp_class_f32_e64 s30, s28, 0x204
	v_pk_add_f32 v[2:3], v[6:7], v[0:1]
	s_and_b32 s29, s29, exec_lo
	s_delay_alu instid0(VALU_DEP_1) | instskip(NEXT) | instid1(VALU_DEP_2)
	v_readfirstlane_b32 s29, v2
	v_pk_add_f32 v[4:5], v[2:3], v[6:7] neg_lo:[0,1] neg_hi:[0,1]
	v_readfirstlane_b32 s31, v3
	s_cselect_b32 s26, s26, s29
	v_pk_add_f32 v[0:1], v[0:1], v[4:5] neg_lo:[0,1] neg_hi:[0,1]
	s_and_b32 s29, s26, 0x7fffffff
	s_delay_alu instid0(SALU_CYCLE_1) | instskip(SKIP_4) | instid1(SALU_CYCLE_1)
	s_cmp_neq_f32 s29, 0x7f800000
	s_cselect_b32 vcc_lo, -1, 0
	s_cmp_eq_f32 s26, 0x42b17218
	v_cndmask_b32_e32 v0, 0, v0, vcc_lo
	s_cselect_b32 s29, 0x37000000, 0
	s_sub_f32 s26, s26, s29
	s_delay_alu instid0(VALU_DEP_1) | instskip(NEXT) | instid1(SALU_CYCLE_2)
	v_add_f32_e32 v0, s29, v0
	s_mul_f32 s29, s26, 0x3fb8aa3b
	s_delay_alu instid0(SALU_CYCLE_3) | instskip(SKIP_3) | instid1(SALU_CYCLE_1)
	s_xor_b32 s33, s29, 0x80000000
	s_rndne_f32 s36, s29
	s_cmp_nlt_f32 s26, 0xc2ce8ed0
	s_fmamk_f32 s33, s26, 0x3fb8aa3b, s33
	s_sub_f32 s29, s29, s36
	s_cvt_i32_f32 s36, s36
	s_cselect_b32 vcc_lo, -1, 0
	s_cmp_ngt_f32 s26, 0x42b17218
	s_fmamk_f32 s33, s26, 0x32a5705f, s33
	s_delay_alu instid0(SALU_CYCLE_3) | instskip(NEXT) | instid1(SALU_CYCLE_3)
	s_add_f32 s29, s29, s33
	v_s_exp_f32 s29, s29
	v_nop
	s_delay_alu instid0(TRANS32_DEP_1) | instskip(NEXT) | instid1(VALU_DEP_1)
	v_ldexp_f32 v2, s29, s36
	v_cndmask_b32_e32 v2, 0, v2, vcc_lo
	s_cselect_b32 vcc_lo, -1, 0
	s_cmp_eq_f32 s34, s0
	s_delay_alu instid0(VALU_DEP_1) | instskip(SKIP_2) | instid1(VALU_DEP_1)
	v_cndmask_b32_e32 v2, 0x7f800000, v2, vcc_lo
	s_cselect_b32 s26, -1, 0
	s_cmp_neq_f32 s37, s35
	v_fma_f32 v0, v2, v0, v2
	v_cmp_class_f32_e64 vcc_lo, v2, 0x204
	s_cselect_b32 s29, -1, 0
	s_delay_alu instid0(SALU_CYCLE_1) | instskip(NEXT) | instid1(SALU_CYCLE_1)
	s_and_b32 s26, s26, s29
	s_and_b32 s29, s26, exec_lo
	s_cselect_b32 s29, s22, 1.0
	s_cmp_eq_f32 s34, s0
	v_cndmask_b32_e32 v0, v0, v2, vcc_lo
	s_cselect_b32 s0, -1, 0
	s_delay_alu instid0(SALU_CYCLE_1) | instskip(NEXT) | instid1(VALU_DEP_1)
	s_and_b32 s0, s0, exec_lo
	v_bfi_b32 v0, 0x7fffffff, v0, s29
	s_delay_alu instid0(VALU_DEP_1) | instskip(SKIP_3) | instid1(SALU_CYCLE_1)
	v_readfirstlane_b32 s29, v0
	s_cselect_b32 s33, s29, 0x7fc00000
	s_and_b32 s0, s30, exec_lo
	s_cselect_b32 s0, s28, s31
	s_and_b32 s28, s0, 0x7fffffff
	s_delay_alu instid0(SALU_CYCLE_1) | instskip(SKIP_4) | instid1(SALU_CYCLE_1)
	s_cmp_neq_f32 s28, 0x7f800000
	s_cselect_b32 vcc_lo, -1, 0
	s_cmp_eq_f32 s0, 0x42b17218
	v_cndmask_b32_e32 v0, 0, v1, vcc_lo
	s_cselect_b32 s28, 0x37000000, 0
	s_sub_f32 s0, s0, s28
	s_delay_alu instid0(VALU_DEP_1) | instskip(NEXT) | instid1(SALU_CYCLE_2)
	v_add_f32_e32 v0, s28, v0
	s_mul_f32 s28, s0, 0x3fb8aa3b
	s_delay_alu instid0(SALU_CYCLE_3) | instskip(SKIP_3) | instid1(SALU_CYCLE_1)
	s_xor_b32 s30, s28, 0x80000000
	s_rndne_f32 s31, s28
	s_cmp_nlt_f32 s0, 0xc2ce8ed0
	s_fmamk_f32 s30, s0, 0x3fb8aa3b, s30
	s_sub_f32 s28, s28, s31
	s_cvt_i32_f32 s31, s31
	s_cselect_b32 vcc_lo, -1, 0
	s_cmp_ngt_f32 s0, 0x42b17218
	s_fmamk_f32 s30, s0, 0x32a5705f, s30
	s_delay_alu instid0(SALU_CYCLE_3) | instskip(NEXT) | instid1(SALU_CYCLE_3)
	s_add_f32 s28, s28, s30
	v_s_exp_f32 s28, s28
	v_nop
	s_delay_alu instid0(TRANS32_DEP_1) | instskip(NEXT) | instid1(VALU_DEP_1)
	v_ldexp_f32 v1, s28, s31
	v_cndmask_b32_e32 v1, 0, v1, vcc_lo
	s_cselect_b32 vcc_lo, -1, 0
	s_cmp_eq_f32 s38, s1
	s_delay_alu instid0(VALU_DEP_1) | instskip(SKIP_2) | instid1(VALU_DEP_1)
	v_cndmask_b32_e32 v1, 0x7f800000, v1, vcc_lo
	s_cselect_b32 s0, -1, 0
	s_cmp_neq_f32 s41, s39
	v_fma_f32 v0, v1, v0, v1
	v_cmp_class_f32_e64 vcc_lo, v1, 0x204
	s_cselect_b32 s28, -1, 0
	s_delay_alu instid0(SALU_CYCLE_1)
	s_and_b32 s0, s0, s28
	s_cmp_eq_f32 s38, s1
	v_dual_cndmask_b32 v2, 1.0, v13, s0 :: v_dual_cndmask_b32 v3, 0, v13, s0
	v_cndmask_b32_e32 v0, v0, v1, vcc_lo
	s_cselect_b32 s0, -1, 0
	v_cmp_gt_f32_e32 vcc_lo, 0, v13
	s_and_b32 s0, s0, exec_lo
	s_delay_alu instid0(VALU_DEP_2) | instskip(NEXT) | instid1(VALU_DEP_1)
	v_bfi_b32 v0, 0x7fffffff, v0, v2
	v_readfirstlane_b32 s0, v0
	s_cselect_b32 s1, s0, 0x7fc00000
	s_cmp_eq_f32 s20, 0
	s_cselect_b32 s28, -1, 0
	s_delay_alu instid0(SALU_CYCLE_1)
	s_and_b32 s30, s28, exec_lo
	s_cselect_b32 s30, 0, 0x7f800000
	s_or_b32 s21, s28, s21
	s_cmp_lt_f32 s20, 0
	v_bfi_b32 v0, 0x7fffffff, s30, v3
	s_cselect_b32 s0, s1, s0
	s_and_b32 s1, s21, exec_lo
	s_delay_alu instid0(VALU_DEP_1)
	v_readfirstlane_b32 s1, v0
	s_cselect_b32 s0, s1, s0
	s_cmp_o_f32 s20, s20
	s_cselect_b32 s0, s0, 0x7fc00000
	s_cmp_lt_f32 s22, 0
	s_cselect_b32 s1, s33, s29
	s_cmp_eq_f32 s22, 0
	s_cselect_b32 s20, -1, 0
	s_delay_alu instid0(SALU_CYCLE_1)
	s_and_b32 s21, s20, exec_lo
	s_cselect_b32 s21, 0, 0x7f800000
	s_or_b32 s20, s20, s23
	s_and_b32 s23, s26, exec_lo
	s_cselect_b32 s23, s22, 0
	s_and_b32 s20, s20, exec_lo
	v_mov_b32_e32 v0, s23
	s_delay_alu instid0(VALU_DEP_1) | instskip(NEXT) | instid1(VALU_DEP_1)
	v_bfi_b32 v0, 0x7fffffff, s21, v0
	v_readfirstlane_b32 s21, v0
	s_cselect_b32 s1, s21, s1
	s_cmp_o_f32 s22, s22
	s_mul_f32 s1, s1, 0x3e800000
	s_delay_alu instid0(SALU_CYCLE_3) | instskip(NEXT) | instid1(SALU_CYCLE_1)
	s_cselect_b32 s1, s1, 0x7fc00000
	s_add_f32 s0, s0, s1
	s_delay_alu instid0(SALU_CYCLE_3) | instskip(SKIP_1) | instid1(SALU_CYCLE_2)
	s_mul_f32 s1, s0, 0x4f800000
	s_cmp_lt_f32 s0, 0xf800000
	s_cselect_b32 s1, s1, s0
	s_delay_alu instid0(SALU_CYCLE_1) | instskip(SKIP_1) | instid1(TRANS32_DEP_1)
	v_s_sqrt_f32 s20, s1
	s_mov_b32 s21, s1
	s_add_co_i32 s22, s20, -1
	s_delay_alu instid0(SALU_CYCLE_1) | instskip(NEXT) | instid1(SALU_CYCLE_1)
	s_xor_b32 s23, s22, 0x80000000
	s_fmac_f32 s21, s23, s20
	s_mov_b32 s23, s1
	s_delay_alu instid0(SALU_CYCLE_2) | instskip(SKIP_2) | instid1(SALU_CYCLE_1)
	s_cmp_le_f32 s21, 0
	s_cselect_b32 s21, s22, s20
	s_add_co_i32 s22, s20, 1
	s_xor_b32 s26, s22, 0x80000000
	s_delay_alu instid0(SALU_CYCLE_1) | instskip(SKIP_1) | instid1(SALU_CYCLE_2)
	s_fmac_f32 s23, s26, s20
	v_cmp_class_f32_e64 s20, s1, 0x260
	s_cmp_gt_f32 s23, 0
	s_cselect_b32 s21, s22, s21
	s_cmp_lt_f32 s0, 0xf800000
	s_mul_f32 s0, s21, 0x37800000
	s_delay_alu instid0(SALU_CYCLE_3)
	s_cselect_b32 s0, s0, s21
	s_and_b32 s20, s20, exec_lo
	s_cselect_b32 s0, s1, s0
	s_add_co_i32 s15, s15, -1
	s_wait_loadcnt 0x0
	v_mul_f32_e32 v0, s0, v14
	s_add_co_i32 s0, s18, -2
	s_add_co_i32 s18, s18, s24
	s_cmp_lg_u32 s15, 0
	v_mov_b32_e32 v2, s0
	v_xor_b32_e32 v1, 0x80000000, v0
	s_delay_alu instid0(VALU_DEP_1)
	v_cndmask_b32_e32 v0, v0, v1, vcc_lo
	global_store_b32 v2, v0, s[4:5] scale_offset
	s_cbranch_scc1 .LBB1_10
.LBB1_11:
	s_add_co_i32 s15, s3, -1
	s_delay_alu instid0(SALU_CYCLE_1) | instskip(SKIP_2) | instid1(SALU_CYCLE_1)
	s_cmp_lt_i32 s14, s15
	s_cselect_b32 s0, -1, 0
	s_xor_b32 s1, s27, -1
	s_or_b32 s0, s0, s1
	s_delay_alu instid0(SALU_CYCLE_1)
	s_and_b32 vcc_lo, exec_lo, s0
	s_cbranch_vccnz .LBB1_14
; %bb.12:
	s_mul_i32 s0, s2, s15
	s_add_co_i32 s1, s3, -2
	s_mul_i32 s0, s0, 12
	s_mul_i32 s1, s2, s1
	v_mov_b32_e32 v12, 0
	s_add_co_i32 s18, s0, 12
	s_mul_i32 s0, s1, 12
	s_add_co_i32 s14, s2, -2
	s_add_co_i32 s19, s0, 12
	s_add_nc_u64 s[8:9], s[16:17], 8
	s_mov_b32 s16, 0x3e76c4e1
.LBB1_13:                               ; =>This Inner Loop Header: Depth=1
	s_wait_xcnt 0x0
	v_dual_mov_b32 v0, s19 :: v_dual_mov_b32 v14, s18
	s_clause 0x1
	global_load_b32 v13, v0, s[4:5] offset:12 scale_offset
	global_load_b32 v0, v14, s[4:5] offset:16 scale_offset
	s_wait_loadcnt 0x1
	v_cvt_f64_f32_e64 v[2:3], |v13|
	v_frexp_mant_f32_e64 v1, |v13|
	s_wait_loadcnt 0x0
	v_readfirstlane_b32 s21, v0
	v_cmp_class_f32_e64 s20, v13, 0x204
	s_delay_alu instid0(VALU_DEP_3) | instskip(SKIP_2) | instid1(SALU_CYCLE_1)
	v_readfirstlane_b32 s0, v1
	s_cmp_lt_f32 s0, 0x3f2aaaab
	s_cselect_b32 vcc_lo, -1, 0
	s_and_b32 s1, vcc_lo, exec_lo
	s_cselect_b32 s1, 2.0, 1.0
	s_add_co_i32 s17, s18, -8
	s_mul_f32 s0, s0, s1
	s_delay_alu instid0(SALU_CYCLE_3) | instskip(SKIP_1) | instid1(SALU_CYCLE_3)
	s_add_f32 s22, s0, -1.0
	s_add_f32 s1, s0, 1.0
	v_s_rcp_f32 s23, s1
	s_add_f32 s26, s1, -1.0
	v_frexp_exp_i32_f64_e32 v1, v[2:3]
	v_dual_mov_b32 v2, s17 :: v_dual_mov_b32 v3, s22
	s_delay_alu instid0(SALU_CYCLE_1)
	s_sub_f32 s0, s0, s26
	v_readfirstlane_b32 s17, v13
	global_load_b32 v6, v2, s[4:5] scale_offset
	global_load_b32 v15, v12, s[8:9]
	s_mul_f32 s26, s22, s23
	s_wait_xcnt 0x0
	s_add_nc_u64 s[8:9], s[8:9], 4
	s_delay_alu instid0(SALU_CYCLE_1) | instskip(NEXT) | instid1(SALU_CYCLE_3)
	s_mul_f32 s27, s1, s26
	s_xor_b32 s28, s27, 0x80000000
	s_delay_alu instid0(SALU_CYCLE_1) | instskip(NEXT) | instid1(SALU_CYCLE_3)
	s_fmac_f32 s28, s26, s1
	s_fmac_f32 s28, s26, s0
	s_delay_alu instid0(SALU_CYCLE_3) | instskip(SKIP_1) | instid1(SALU_CYCLE_3)
	v_dual_mov_b32 v4, s27 :: v_dual_mov_b32 v10, s28
	s_add_f32 s0, s27, s28
	s_sub_f32 s1, s22, s0
	v_mov_b32_e32 v2, s0
	v_subrev_co_ci_u32_e64 v1, null, 0, v1, vcc_lo
	s_delay_alu instid0(SALU_CYCLE_1) | instskip(NEXT) | instid1(VALU_DEP_2)
	v_dual_mov_b32 v5, s1 :: v_dual_mov_b32 v11, s0
	v_cvt_f32_i32_e32 v1, v1
	s_delay_alu instid0(VALU_DEP_2) | instskip(NEXT) | instid1(VALU_DEP_2)
	v_pk_add_f32 v[2:3], v[2:3], v[4:5] neg_lo:[0,1] neg_hi:[0,1]
	v_mul_f32_e32 v0, 0x3f317218, v1
	s_delay_alu instid0(VALU_DEP_2) | instskip(NEXT) | instid1(VALU_DEP_2)
	v_pk_add_f32 v[2:3], v[2:3], v[10:11] neg_lo:[0,1] neg_hi:[0,1]
	v_xor_b32_e32 v8, 0x80000000, v0
	s_delay_alu instid0(VALU_DEP_2) | instskip(NEXT) | instid1(VALU_DEP_3)
	v_readfirstlane_b32 s0, v3
	v_readfirstlane_b32 s22, v2
	s_delay_alu instid0(VALU_DEP_3) | instskip(SKIP_1) | instid1(SALU_CYCLE_3)
	v_fmac_f32_e32 v8, 0x3f317218, v1
	s_add_f32 s0, s22, s0
	s_add_f32 s0, s1, s0
	s_delay_alu instid0(SALU_CYCLE_3) | instskip(NEXT) | instid1(SALU_CYCLE_3)
	s_mul_f32 s1, s23, s0
	s_add_f32 s0, s26, s1
	s_delay_alu instid0(SALU_CYCLE_3) | instskip(SKIP_2) | instid1(SALU_CYCLE_1)
	s_sub_f32 s22, s0, s26
	s_mul_f32 s23, s0, s0
	v_ldexp_f32 v9, s0, 1
	s_sub_f32 s26, s1, s22
	s_delay_alu instid0(SALU_CYCLE_1) | instskip(NEXT) | instid1(SALU_CYCLE_1)
	s_xor_b32 s1, s23, 0x80000000
	s_fmac_f32 s1, s0, s0
	s_delay_alu instid0(SALU_CYCLE_1) | instskip(SKIP_1) | instid1(SALU_CYCLE_2)
	s_add_f32 s22, s26, s26
	v_ldexp_f32 v7, s26, 1
	s_fmac_f32 s1, s0, s22
	s_delay_alu instid0(SALU_CYCLE_3) | instskip(NEXT) | instid1(SALU_CYCLE_3)
	s_add_f32 s22, s23, s1
	s_fmaak_f32 s27, s22, s16, 0x3e91f4c4
	s_sub_f32 s23, s22, s23
	s_delay_alu instid0(SALU_CYCLE_2) | instskip(NEXT) | instid1(SALU_CYCLE_2)
	s_fmaak_f32 s27, s22, s27, 0x3ecccdef
	s_sub_f32 s28, s1, s23
	s_delay_alu instid0(SALU_CYCLE_2) | instskip(NEXT) | instid1(SALU_CYCLE_3)
	s_mul_f32 s1, s22, s27
	s_xor_b32 s23, s1, 0x80000000
	s_delay_alu instid0(SALU_CYCLE_1) | instskip(NEXT) | instid1(SALU_CYCLE_3)
	s_fmac_f32 s23, s22, s27
	s_fmac_f32 s23, s28, s27
	s_delay_alu instid0(SALU_CYCLE_3) | instskip(NEXT) | instid1(SALU_CYCLE_3)
	s_add_f32 s27, s1, s23
	s_sub_f32 s1, s27, s1
	s_add_f32 s29, s27, 0x3f2aaaaa
	v_fmac_f32_e32 v8, 0xb102e308, v1
	s_delay_alu instid0(SALU_CYCLE_1) | instskip(NEXT) | instid1(SALU_CYCLE_1)
	s_sub_f32 s1, s23, s1
	s_add_f32 s23, s29, 0xbf2aaaaa
	v_mov_b32_e32 v3, s29
	s_delay_alu instid0(SALU_CYCLE_1) | instskip(NEXT) | instid1(SALU_CYCLE_1)
	s_add_f32 s1, s1, 0x31739010
	s_sub_f32 s23, s27, s23
	s_delay_alu instid0(SALU_CYCLE_2) | instskip(NEXT) | instid1(SALU_CYCLE_2)
	v_mov_b64_e32 v[4:5], s[0:1]
	v_mov_b64_e32 v[10:11], s[22:23]
	s_delay_alu instid0(VALU_DEP_1) | instskip(SKIP_1) | instid1(VALU_DEP_2)
	v_pk_mul_f32 v[16:17], v[4:5], v[10:11]
	v_pk_add_f32 v[4:5], v[4:5], v[10:11]
	v_xor_b32_e32 v2, 0x80000000, v16
	s_delay_alu instid0(VALU_DEP_2) | instskip(NEXT) | instid1(VALU_DEP_2)
	v_mov_b32_e32 v17, v5
	v_fmac_f32_e64 v2, s22, s0
	s_delay_alu instid0(VALU_DEP_1) | instskip(NEXT) | instid1(VALU_DEP_1)
	v_fmac_f32_e64 v2, s22, s26
	v_fmac_f32_e64 v2, s28, s0
	s_delay_alu instid0(VALU_DEP_1) | instskip(NEXT) | instid1(VALU_DEP_1)
	v_pk_add_f32 v[10:11], v[16:17], v[2:3]
	v_dual_mov_b32 v4, v11 :: v_dual_sub_f32 v1, v10, v16
	v_sub_f32_e32 v3, s29, v11
	s_delay_alu instid0(VALU_DEP_2) | instskip(NEXT) | instid1(VALU_DEP_2)
	v_pk_mul_f32 v[16:17], v[10:11], v[4:5]
	v_dual_sub_f32 v1, v2, v1 :: v_dual_add_f32 v3, v5, v3
	s_delay_alu instid0(VALU_DEP_2) | instskip(NEXT) | instid1(VALU_DEP_1)
	v_xor_b32_e32 v2, 0x80000000, v16
	v_dual_mov_b32 v17, v9 :: v_dual_fmac_f32 v2, v10, v11
	s_delay_alu instid0(VALU_DEP_1) | instskip(NEXT) | instid1(VALU_DEP_1)
	v_fmac_f32_e32 v2, v10, v3
	v_fmac_f32_e32 v2, v1, v11
	s_delay_alu instid0(VALU_DEP_1) | instskip(NEXT) | instid1(VALU_DEP_1)
	v_add_f32_e32 v1, v16, v2
	v_pk_add_f32 v[10:11], v[0:1], v[8:9]
	v_dual_mov_b32 v4, v1 :: v_dual_mov_b32 v3, v1
	s_delay_alu instid0(VALU_DEP_2) | instskip(SKIP_1) | instid1(VALU_DEP_2)
	v_dual_mov_b32 v5, v11 :: v_dual_mov_b32 v9, v10
	v_dual_mov_b32 v18, v11 :: v_dual_mov_b32 v21, v10
	v_pk_add_f32 v[4:5], v[4:5], v[16:17] neg_lo:[0,1] neg_hi:[0,1]
	s_delay_alu instid0(VALU_DEP_1) | instskip(NEXT) | instid1(VALU_DEP_1)
	v_pk_add_f32 v[2:3], v[2:3], v[4:5] neg_lo:[0,1] neg_hi:[0,1]
	v_add_f32_e32 v1, v7, v2
	s_delay_alu instid0(VALU_DEP_1) | instskip(NEXT) | instid1(VALU_DEP_1)
	v_add_f32_e32 v1, v1, v3
	v_pk_add_f32 v[2:3], v[10:11], v[0:1]
	v_pk_add_f32 v[16:17], v[10:11], v[0:1] neg_lo:[0,1] neg_hi:[0,1]
	s_delay_alu instid0(VALU_DEP_2) | instskip(NEXT) | instid1(VALU_DEP_1)
	v_dual_mov_b32 v17, v3 :: v_dual_mov_b32 v20, v1
	v_pk_add_f32 v[4:5], v[8:9], v[16:17]
	v_pk_add_f32 v[0:1], v[8:9], v[16:17] neg_lo:[0,1] neg_hi:[0,1]
	s_delay_alu instid0(VALU_DEP_2) | instskip(NEXT) | instid1(VALU_DEP_1)
	v_dual_mov_b32 v4, v3 :: v_dual_mov_b32 v8, v5
	v_pk_add_f32 v[8:9], v[8:9], v[10:11] neg_lo:[0,1] neg_hi:[0,1]
	s_delay_alu instid0(VALU_DEP_1) | instskip(SKIP_1) | instid1(VALU_DEP_2)
	v_dual_mov_b32 v1, v5 :: v_dual_mov_b32 v19, v8
	v_mov_b32_e32 v7, v8
	v_pk_add_f32 v[8:9], v[4:5], v[18:19] neg_lo:[0,1] neg_hi:[0,1]
	s_wait_loadcnt 0x1
	v_readfirstlane_b32 s0, v6
	s_delay_alu instid0(VALU_DEP_3) | instskip(SKIP_3) | instid1(VALU_DEP_1)
	v_pk_add_f32 v[10:11], v[2:3], v[6:7] neg_lo:[0,1] neg_hi:[0,1]
	v_mov_b32_e32 v10, v0
	v_pk_add_f32 v[2:3], v[20:21], v[8:9] neg_lo:[0,1] neg_hi:[0,1]
	s_add_f32 s21, s21, s0
	v_pk_add_f32 v[8:9], v[10:11], v[2:3]
	s_delay_alu instid0(SALU_CYCLE_2) | instskip(SKIP_2) | instid1(VALU_DEP_4)
	v_cvt_f64_f32_e64 v[16:17], |s21|
	v_frexp_mant_f32_e64 v3, |s21|
	v_cmp_class_f32_e64 s22, s21, 0x204
	v_dual_mov_b32 v7, v8 :: v_dual_mov_b32 v11, v9
	s_delay_alu instid0(VALU_DEP_3) | instskip(SKIP_2) | instid1(SALU_CYCLE_1)
	v_readfirstlane_b32 s0, v3
	s_cmp_lt_f32 s0, 0x3f2aaaab
	s_cselect_b32 vcc_lo, -1, 0
	s_and_b32 s1, vcc_lo, exec_lo
	s_cselect_b32 s1, 2.0, 1.0
	s_delay_alu instid0(SALU_CYCLE_1) | instskip(NEXT) | instid1(SALU_CYCLE_3)
	s_mul_f32 s0, s0, s1
	s_add_f32 s1, s0, 1.0
	s_add_f32 s23, s0, -1.0
	s_delay_alu instid0(SALU_CYCLE_2) | instskip(SKIP_1) | instid1(SALU_CYCLE_1)
	v_s_rcp_f32 s26, s1
	s_add_f32 s27, s1, -1.0
	v_mov_b32_e32 v19, s23
	v_frexp_exp_i32_f64_e32 v3, v[16:17]
	s_delay_alu instid0(SALU_CYCLE_1) | instskip(NEXT) | instid1(TRANS32_DEP_1)
	s_sub_f32 s0, s0, s27
	s_mul_f32 s27, s23, s26
	s_delay_alu instid0(SALU_CYCLE_3) | instskip(NEXT) | instid1(SALU_CYCLE_3)
	s_mul_f32 s28, s1, s27
	s_xor_b32 s29, s28, 0x80000000
	s_delay_alu instid0(SALU_CYCLE_1) | instskip(NEXT) | instid1(SALU_CYCLE_3)
	s_fmac_f32 s29, s27, s1
	s_fmac_f32 s29, s27, s0
	s_delay_alu instid0(SALU_CYCLE_3) | instskip(SKIP_1) | instid1(SALU_CYCLE_3)
	v_dual_mov_b32 v22, s28 :: v_dual_mov_b32 v24, s29
	s_add_f32 s0, s28, s29
	s_sub_f32 s1, s23, s0
	v_dual_mov_b32 v18, s0 :: v_dual_mov_b32 v25, s0
	s_delay_alu instid0(SALU_CYCLE_2) | instskip(NEXT) | instid1(VALU_DEP_4)
	v_mov_b32_e32 v23, s1
	v_subrev_co_ci_u32_e64 v3, null, 0, v3, vcc_lo
	s_delay_alu instid0(VALU_DEP_2) | instskip(NEXT) | instid1(VALU_DEP_2)
	v_pk_add_f32 v[18:19], v[18:19], v[22:23] neg_lo:[0,1] neg_hi:[0,1]
	v_cvt_f32_i32_e32 v3, v3
	s_delay_alu instid0(VALU_DEP_2) | instskip(NEXT) | instid1(VALU_DEP_2)
	v_pk_add_f32 v[18:19], v[18:19], v[24:25] neg_lo:[0,1] neg_hi:[0,1]
	v_mul_f32_e32 v16, 0x3f317218, v3
	s_delay_alu instid0(VALU_DEP_2) | instskip(NEXT) | instid1(VALU_DEP_2)
	v_readfirstlane_b32 s0, v19
	v_xor_b32_e32 v20, 0x80000000, v16
	s_delay_alu instid0(VALU_DEP_4) | instskip(NEXT) | instid1(VALU_DEP_2)
	v_readfirstlane_b32 s23, v18
	v_fmac_f32_e32 v20, 0x3f317218, v3
	s_add_f32 s0, s23, s0
	s_delay_alu instid0(VALU_DEP_1) | instskip(NEXT) | instid1(SALU_CYCLE_2)
	v_fmac_f32_e32 v20, 0xb102e308, v3
	s_add_f32 s0, s1, s0
	s_delay_alu instid0(SALU_CYCLE_3) | instskip(NEXT) | instid1(SALU_CYCLE_3)
	s_mul_f32 s0, s26, s0
	s_add_f32 s26, s27, s0
	s_delay_alu instid0(SALU_CYCLE_3) | instskip(SKIP_2) | instid1(SALU_CYCLE_1)
	s_sub_f32 s1, s26, s27
	s_mul_f32 s23, s26, s26
	v_ldexp_f32 v21, s26, 1
	s_sub_f32 s30, s0, s1
	s_delay_alu instid0(SALU_CYCLE_1) | instskip(NEXT) | instid1(SALU_CYCLE_1)
	s_xor_b32 s0, s23, 0x80000000
	s_fmac_f32 s0, s26, s26
	s_delay_alu instid0(SALU_CYCLE_1) | instskip(SKIP_1) | instid1(SALU_CYCLE_2)
	s_add_f32 s1, s30, s30
	v_ldexp_f32 v3, s30, 1
	s_fmac_f32 s0, s26, s1
	s_delay_alu instid0(SALU_CYCLE_3) | instskip(NEXT) | instid1(SALU_CYCLE_3)
	s_add_f32 s28, s23, s0
	s_fmaak_f32 s1, s28, s16, 0x3e91f4c4
	s_sub_f32 s23, s28, s23
	s_delay_alu instid0(SALU_CYCLE_2) | instskip(NEXT) | instid1(SALU_CYCLE_2)
	s_fmaak_f32 s1, s28, s1, 0x3ecccdef
	s_sub_f32 s23, s0, s23
	s_delay_alu instid0(SALU_CYCLE_2) | instskip(NEXT) | instid1(SALU_CYCLE_3)
	s_mul_f32 s27, s28, s1
	s_xor_b32 s29, s27, 0x80000000
	s_cmp_eq_f32 s21, 1.0
	s_fmac_f32 s29, s28, s1
	s_cselect_b32 s0, 1.0, 2.0
	s_cmp_eq_f32 s17, 1.0
	s_delay_alu instid0(SALU_CYCLE_1)
	s_fmac_f32 s29, s23, s1
	s_trunc_f32 s31, s0
	s_mul_f32 s33, s0, 0.5
	s_cselect_b32 s1, 1.0, 2.0
	s_add_f32 s34, s27, s29
	v_mov_b64_e32 v[18:19], s[0:1]
	s_trunc_f32 s35, s33
	s_trunc_f32 s36, s1
	s_mul_f32 s37, s1, 0.5
	s_sub_f32 s27, s34, s27
	s_add_f32 s38, s34, 0x3f2aaaaa
	s_delay_alu instid0(SALU_CYCLE_1) | instskip(NEXT) | instid1(SALU_CYCLE_1)
	s_trunc_f32 s39, s37
	s_sub_f32 s27, s29, s27
	s_delay_alu instid0(SALU_CYCLE_1) | instskip(SKIP_1) | instid1(SALU_CYCLE_1)
	s_add_f32 s29, s38, 0xbf2aaaaa
	v_mov_b32_e32 v23, s38
	s_add_f32 s27, s27, 0x31739010
	s_delay_alu instid0(SALU_CYCLE_1) | instskip(NEXT) | instid1(SALU_CYCLE_2)
	s_sub_f32 s29, s34, s29
	v_mov_b64_e32 v[24:25], s[26:27]
	s_delay_alu instid0(SALU_CYCLE_2) | instskip(NEXT) | instid1(VALU_DEP_1)
	v_mov_b64_e32 v[26:27], s[28:29]
	v_pk_mul_f32 v[28:29], v[24:25], v[26:27]
	v_pk_add_f32 v[24:25], v[24:25], v[26:27]
	s_delay_alu instid0(VALU_DEP_2) | instskip(NEXT) | instid1(VALU_DEP_2)
	v_xor_b32_e32 v22, 0x80000000, v28
	v_mov_b32_e32 v29, v25
	s_delay_alu instid0(VALU_DEP_2) | instskip(NEXT) | instid1(VALU_DEP_1)
	v_fmac_f32_e64 v22, s28, s26
	v_fmac_f32_e64 v22, s28, s30
	s_delay_alu instid0(VALU_DEP_1) | instskip(NEXT) | instid1(VALU_DEP_1)
	v_fmac_f32_e64 v22, s23, s26
	v_pk_add_f32 v[26:27], v[28:29], v[22:23]
	s_delay_alu instid0(VALU_DEP_1) | instskip(SKIP_1) | instid1(VALU_DEP_2)
	v_dual_mov_b32 v4, v27 :: v_dual_sub_f32 v6, v26, v28
	v_sub_f32_e32 v9, s38, v27
	v_pk_mul_f32 v[28:29], v[26:27], v[4:5]
	s_delay_alu instid0(VALU_DEP_2) | instskip(NEXT) | instid1(VALU_DEP_2)
	v_dual_sub_f32 v4, v22, v6 :: v_dual_add_f32 v6, v25, v9
	v_xor_b32_e32 v22, 0x80000000, v28
	s_delay_alu instid0(VALU_DEP_1) | instskip(NEXT) | instid1(VALU_DEP_1)
	v_dual_mov_b32 v29, v21 :: v_dual_fmac_f32 v22, v26, v27
	v_fmac_f32_e32 v22, v26, v6
	s_delay_alu instid0(VALU_DEP_1) | instskip(NEXT) | instid1(VALU_DEP_1)
	v_fmac_f32_e32 v22, v4, v27
	v_add_f32_e32 v17, v28, v22
	s_delay_alu instid0(VALU_DEP_1) | instskip(NEXT) | instid1(VALU_DEP_1)
	v_pk_add_f32 v[24:25], v[16:17], v[20:21]
	v_dual_mov_b32 v27, v25 :: v_dual_mov_b32 v26, v17
	s_delay_alu instid0(VALU_DEP_2) | instskip(SKIP_1) | instid1(VALU_DEP_3)
	v_dual_mov_b32 v23, v17 :: v_dual_mov_b32 v21, v24
	v_mov_b32_e32 v30, v25
	v_pk_add_f32 v[26:27], v[26:27], v[28:29] neg_lo:[0,1] neg_hi:[0,1]
	s_delay_alu instid0(VALU_DEP_1) | instskip(NEXT) | instid1(VALU_DEP_1)
	v_pk_add_f32 v[22:23], v[22:23], v[26:27] neg_lo:[0,1] neg_hi:[0,1]
	v_dual_mov_b32 v33, v24 :: v_dual_add_f32 v3, v3, v22
	s_delay_alu instid0(VALU_DEP_1) | instskip(NEXT) | instid1(VALU_DEP_1)
	v_add_f32_e32 v17, v3, v23
	v_pk_add_f32 v[22:23], v[24:25], v[16:17]
	v_pk_add_f32 v[26:27], v[24:25], v[16:17] neg_lo:[0,1] neg_hi:[0,1]
	s_delay_alu instid0(VALU_DEP_2) | instskip(NEXT) | instid1(VALU_DEP_1)
	v_dual_mov_b32 v32, v17 :: v_dual_mov_b32 v27, v23
	v_pk_add_f32 v[16:17], v[20:21], v[26:27]
	v_pk_add_f32 v[20:21], v[20:21], v[26:27] neg_lo:[0,1] neg_hi:[0,1]
	s_delay_alu instid0(VALU_DEP_2) | instskip(SKIP_1) | instid1(VALU_DEP_2)
	v_dual_mov_b32 v16, v23 :: v_dual_mov_b32 v6, v17
	v_dual_mov_b32 v21, v17 :: v_dual_mov_b32 v4, v17
	v_pk_add_f32 v[24:25], v[6:7], v[24:25] neg_lo:[0,1] neg_hi:[0,1]
	s_delay_alu instid0(VALU_DEP_1) | instskip(NEXT) | instid1(VALU_DEP_1)
	v_dual_mov_b32 v31, v24 :: v_dual_mov_b32 v3, v24
	v_pk_add_f32 v[16:17], v[16:17], v[30:31] neg_lo:[0,1] neg_hi:[0,1]
	s_delay_alu instid0(VALU_DEP_2) | instskip(SKIP_1) | instid1(VALU_DEP_3)
	v_pk_add_f32 v[22:23], v[22:23], v[2:3] neg_lo:[0,1] neg_hi:[0,1]
	v_mov_b32_e32 v22, v20
	v_pk_add_f32 v[16:17], v[32:33], v[16:17] neg_lo:[0,1] neg_hi:[0,1]
	s_delay_alu instid0(VALU_DEP_1) | instskip(NEXT) | instid1(VALU_DEP_1)
	v_pk_add_f32 v[22:23], v[22:23], v[16:17]
	v_dual_mov_b32 v6, v22 :: v_dual_mov_b32 v10, v23
	s_delay_alu instid0(VALU_DEP_1) | instskip(NEXT) | instid1(VALU_DEP_1)
	v_pk_add_f32 v[10:11], v[6:7], v[10:11]
	v_pk_add_f32 v[4:5], v[4:5], v[10:11]
	v_dual_mov_b32 v3, v11 :: v_dual_mov_b32 v17, v10
	s_delay_alu instid0(VALU_DEP_2) | instskip(NEXT) | instid1(VALU_DEP_1)
	v_dual_mov_b32 v23, v4 :: v_dual_mov_b32 v9, v5
	v_pk_add_f32 v[10:11], v[22:23], v[20:21] neg_lo:[0,1] neg_hi:[0,1]
	s_delay_alu instid0(VALU_DEP_2) | instskip(NEXT) | instid1(VALU_DEP_2)
	v_pk_add_f32 v[8:9], v[8:9], v[0:1] neg_lo:[0,1] neg_hi:[0,1]
	v_dual_mov_b32 v21, v0 :: v_dual_mov_b32 v0, v10
	s_delay_alu instid0(VALU_DEP_3) | instskip(NEXT) | instid1(VALU_DEP_3)
	v_pk_add_f32 v[10:11], v[16:17], v[10:11] neg_lo:[0,1] neg_hi:[0,1]
	v_mov_b32_e32 v1, v8
	s_delay_alu instid0(VALU_DEP_4) | instskip(NEXT) | instid1(VALU_DEP_2)
	v_pk_add_f32 v[2:3], v[2:3], v[8:9] neg_lo:[0,1] neg_hi:[0,1]
	v_pk_add_f32 v[0:1], v[6:7], v[0:1] neg_lo:[0,1] neg_hi:[0,1]
	s_delay_alu instid0(VALU_DEP_2) | instskip(SKIP_1) | instid1(VALU_DEP_3)
	v_dual_mov_b32 v6, v10 :: v_dual_mov_b32 v7, v2
	v_mov_b32_e32 v2, v11
	v_pk_add_f32 v[0:1], v[20:21], v[0:1] neg_lo:[0,1] neg_hi:[0,1]
	s_delay_alu instid0(VALU_DEP_1) | instskip(NEXT) | instid1(VALU_DEP_1)
	v_pk_add_f32 v[0:1], v[6:7], v[0:1]
	v_pk_add_f32 v[0:1], v[0:1], v[2:3]
	s_delay_alu instid0(VALU_DEP_1) | instskip(NEXT) | instid1(VALU_DEP_1)
	v_pk_add_f32 v[2:3], v[4:5], v[0:1]
	v_pk_add_f32 v[4:5], v[2:3], v[4:5] neg_lo:[0,1] neg_hi:[0,1]
	v_pk_mul_f32 v[6:7], v[18:19], v[2:3]
	s_delay_alu instid0(VALU_DEP_2) | instskip(NEXT) | instid1(VALU_DEP_2)
	v_pk_add_f32 v[0:1], v[0:1], v[4:5] neg_lo:[0,1] neg_hi:[0,1]
	v_pk_fma_f32 v[2:3], v[18:19], v[2:3], v[6:7] neg_lo:[0,0,1] neg_hi:[0,0,1]
	v_readfirstlane_b32 s23, v6
	v_readfirstlane_b32 s26, v7
	s_delay_alu instid0(VALU_DEP_3) | instskip(NEXT) | instid1(VALU_DEP_3)
	v_pk_fma_f32 v[0:1], v[18:19], v[0:1], v[2:3]
	v_cmp_class_f32_e64 s27, s23, 0x204
	s_delay_alu instid0(VALU_DEP_3) | instskip(NEXT) | instid1(VALU_DEP_3)
	v_cmp_class_f32_e64 s28, s26, 0x204
	v_pk_add_f32 v[2:3], v[6:7], v[0:1]
	s_and_b32 s27, s27, exec_lo
	s_delay_alu instid0(VALU_DEP_1) | instskip(NEXT) | instid1(VALU_DEP_2)
	v_readfirstlane_b32 s27, v2
	v_pk_add_f32 v[4:5], v[2:3], v[6:7] neg_lo:[0,1] neg_hi:[0,1]
	v_readfirstlane_b32 s29, v3
	s_cselect_b32 s23, s23, s27
	v_pk_add_f32 v[0:1], v[0:1], v[4:5] neg_lo:[0,1] neg_hi:[0,1]
	s_and_b32 s27, s23, 0x7fffffff
	s_delay_alu instid0(SALU_CYCLE_1) | instskip(SKIP_4) | instid1(SALU_CYCLE_1)
	s_cmp_neq_f32 s27, 0x7f800000
	s_cselect_b32 vcc_lo, -1, 0
	s_cmp_eq_f32 s23, 0x42b17218
	v_cndmask_b32_e32 v0, 0, v0, vcc_lo
	s_cselect_b32 s27, 0x37000000, 0
	s_sub_f32 s23, s23, s27
	s_delay_alu instid0(VALU_DEP_1) | instskip(NEXT) | instid1(SALU_CYCLE_2)
	v_add_f32_e32 v0, s27, v0
	s_mul_f32 s27, s23, 0x3fb8aa3b
	s_delay_alu instid0(SALU_CYCLE_3) | instskip(SKIP_3) | instid1(SALU_CYCLE_1)
	s_xor_b32 s30, s27, 0x80000000
	s_rndne_f32 s34, s27
	s_cmp_nlt_f32 s23, 0xc2ce8ed0
	s_fmamk_f32 s30, s23, 0x3fb8aa3b, s30
	s_sub_f32 s27, s27, s34
	s_cvt_i32_f32 s34, s34
	s_cselect_b32 vcc_lo, -1, 0
	s_cmp_ngt_f32 s23, 0x42b17218
	s_fmamk_f32 s30, s23, 0x32a5705f, s30
	s_delay_alu instid0(SALU_CYCLE_3) | instskip(NEXT) | instid1(SALU_CYCLE_3)
	s_add_f32 s27, s27, s30
	v_s_exp_f32 s27, s27
	v_nop
	s_delay_alu instid0(TRANS32_DEP_1) | instskip(NEXT) | instid1(VALU_DEP_1)
	v_ldexp_f32 v2, s27, s34
	v_cndmask_b32_e32 v2, 0, v2, vcc_lo
	s_cselect_b32 vcc_lo, -1, 0
	s_cmp_eq_f32 s31, s0
	s_delay_alu instid0(VALU_DEP_1) | instskip(SKIP_2) | instid1(VALU_DEP_1)
	v_cndmask_b32_e32 v2, 0x7f800000, v2, vcc_lo
	s_cselect_b32 s23, -1, 0
	s_cmp_neq_f32 s35, s33
	v_fma_f32 v0, v2, v0, v2
	v_cmp_class_f32_e64 vcc_lo, v2, 0x204
	s_cselect_b32 s27, -1, 0
	s_delay_alu instid0(SALU_CYCLE_1) | instskip(NEXT) | instid1(SALU_CYCLE_1)
	s_and_b32 s23, s23, s27
	s_and_b32 s27, s23, exec_lo
	s_cselect_b32 s27, s21, 1.0
	s_cmp_eq_f32 s31, s0
	v_cndmask_b32_e32 v0, v0, v2, vcc_lo
	s_cselect_b32 s0, -1, 0
	s_delay_alu instid0(SALU_CYCLE_1) | instskip(NEXT) | instid1(VALU_DEP_1)
	s_and_b32 s0, s0, exec_lo
	v_bfi_b32 v0, 0x7fffffff, v0, s27
	s_delay_alu instid0(VALU_DEP_1) | instskip(SKIP_3) | instid1(SALU_CYCLE_1)
	v_readfirstlane_b32 s27, v0
	s_cselect_b32 s30, s27, 0x7fc00000
	s_and_b32 s0, s28, exec_lo
	s_cselect_b32 s0, s26, s29
	s_and_b32 s26, s0, 0x7fffffff
	s_delay_alu instid0(SALU_CYCLE_1) | instskip(SKIP_4) | instid1(SALU_CYCLE_1)
	s_cmp_neq_f32 s26, 0x7f800000
	s_cselect_b32 vcc_lo, -1, 0
	s_cmp_eq_f32 s0, 0x42b17218
	v_cndmask_b32_e32 v0, 0, v1, vcc_lo
	s_cselect_b32 s26, 0x37000000, 0
	s_sub_f32 s0, s0, s26
	s_delay_alu instid0(VALU_DEP_1) | instskip(NEXT) | instid1(SALU_CYCLE_2)
	v_add_f32_e32 v0, s26, v0
	s_mul_f32 s26, s0, 0x3fb8aa3b
	s_delay_alu instid0(SALU_CYCLE_3) | instskip(SKIP_3) | instid1(SALU_CYCLE_1)
	s_xor_b32 s28, s26, 0x80000000
	s_rndne_f32 s29, s26
	s_fmamk_f32 s28, s0, 0x3fb8aa3b, s28
	s_cmp_nlt_f32 s0, 0xc2ce8ed0
	s_sub_f32 s26, s26, s29
	s_delay_alu instid0(SALU_CYCLE_1) | instskip(SKIP_4) | instid1(SALU_CYCLE_3)
	s_fmamk_f32 s28, s0, 0x32a5705f, s28
	s_cvt_i32_f32 s29, s29
	s_cselect_b32 vcc_lo, -1, 0
	s_cmp_ngt_f32 s0, 0x42b17218
	s_add_f32 s26, s26, s28
	v_s_exp_f32 s26, s26
	v_nop
	s_delay_alu instid0(TRANS32_DEP_1) | instskip(NEXT) | instid1(VALU_DEP_1)
	v_ldexp_f32 v1, s26, s29
	v_cndmask_b32_e32 v1, 0, v1, vcc_lo
	s_cselect_b32 vcc_lo, -1, 0
	s_cmp_eq_f32 s36, s1
	s_delay_alu instid0(VALU_DEP_1) | instskip(SKIP_2) | instid1(VALU_DEP_1)
	v_cndmask_b32_e32 v1, 0x7f800000, v1, vcc_lo
	s_cselect_b32 s0, -1, 0
	s_cmp_neq_f32 s39, s37
	v_fma_f32 v0, v1, v0, v1
	v_cmp_class_f32_e64 vcc_lo, v1, 0x204
	s_cselect_b32 s26, -1, 0
	s_delay_alu instid0(SALU_CYCLE_1)
	s_and_b32 s0, s0, s26
	s_cmp_eq_f32 s36, s1
	v_cndmask_b32_e64 v2, 1.0, v13, s0
	v_cndmask_b32_e32 v0, v0, v1, vcc_lo
	v_cndmask_b32_e64 v3, 0, v13, s0
	s_cselect_b32 s0, -1, 0
	v_cmp_gt_f32_e32 vcc_lo, 0, v13
	s_and_b32 s0, s0, exec_lo
	v_bfi_b32 v0, 0x7fffffff, v0, v2
	s_delay_alu instid0(VALU_DEP_1) | instskip(SKIP_3) | instid1(SALU_CYCLE_1)
	v_readfirstlane_b32 s0, v0
	s_cselect_b32 s1, s0, 0x7fc00000
	s_cmp_eq_f32 s17, 0
	s_cselect_b32 s26, -1, 0
	s_and_b32 s28, s26, exec_lo
	s_cselect_b32 s28, 0, 0x7f800000
	s_or_b32 s20, s26, s20
	s_cmp_lt_f32 s17, 0
	v_bfi_b32 v0, 0x7fffffff, s28, v3
	s_cselect_b32 s0, s1, s0
	s_and_b32 s1, s20, exec_lo
	s_delay_alu instid0(VALU_DEP_1)
	v_readfirstlane_b32 s1, v0
	s_cselect_b32 s0, s1, s0
	s_cmp_o_f32 s17, s17
	s_cselect_b32 s0, s0, 0x7fc00000
	s_cmp_lt_f32 s21, 0
	s_cselect_b32 s1, s30, s27
	s_cmp_eq_f32 s21, 0
	s_cselect_b32 s17, -1, 0
	s_delay_alu instid0(SALU_CYCLE_1)
	s_and_b32 s20, s17, exec_lo
	s_cselect_b32 s20, 0, 0x7f800000
	s_or_b32 s17, s17, s22
	s_and_b32 s22, s23, exec_lo
	s_cselect_b32 s22, s21, 0
	s_and_b32 s17, s17, exec_lo
	v_mov_b32_e32 v0, s22
	s_delay_alu instid0(VALU_DEP_1) | instskip(NEXT) | instid1(VALU_DEP_1)
	v_bfi_b32 v0, 0x7fffffff, s20, v0
	v_readfirstlane_b32 s20, v0
	s_cselect_b32 s1, s20, s1
	s_cmp_o_f32 s21, s21
	s_mul_f32 s1, s1, 0x3e800000
	s_delay_alu instid0(SALU_CYCLE_3) | instskip(NEXT) | instid1(SALU_CYCLE_1)
	s_cselect_b32 s1, s1, 0x7fc00000
	s_add_f32 s0, s0, s1
	s_delay_alu instid0(SALU_CYCLE_3) | instskip(SKIP_1) | instid1(SALU_CYCLE_2)
	s_mul_f32 s1, s0, 0x4f800000
	s_cmp_lt_f32 s0, 0xf800000
	s_cselect_b32 s1, s1, s0
	s_delay_alu instid0(SALU_CYCLE_1) | instskip(SKIP_1) | instid1(TRANS32_DEP_1)
	v_s_sqrt_f32 s17, s1
	s_mov_b32 s20, s1
	s_add_co_i32 s21, s17, -1
	s_delay_alu instid0(SALU_CYCLE_1) | instskip(NEXT) | instid1(SALU_CYCLE_1)
	s_xor_b32 s22, s21, 0x80000000
	s_fmac_f32 s20, s22, s17
	s_mov_b32 s22, s1
	s_delay_alu instid0(SALU_CYCLE_2) | instskip(SKIP_2) | instid1(SALU_CYCLE_1)
	s_cmp_le_f32 s20, 0
	s_cselect_b32 s20, s21, s17
	s_add_co_i32 s21, s17, 1
	s_xor_b32 s23, s21, 0x80000000
	s_delay_alu instid0(SALU_CYCLE_1) | instskip(SKIP_1) | instid1(SALU_CYCLE_2)
	s_fmac_f32 s22, s23, s17
	v_cmp_class_f32_e64 s17, s1, 0x260
	s_cmp_gt_f32 s22, 0
	s_cselect_b32 s20, s21, s20
	s_cmp_lt_f32 s0, 0xf800000
	s_mul_f32 s0, s20, 0x37800000
	s_delay_alu instid0(SALU_CYCLE_3)
	s_cselect_b32 s0, s0, s20
	s_and_b32 s17, s17, exec_lo
	s_cselect_b32 s0, s1, s0
	s_add_co_i32 s14, s14, -1
	s_wait_loadcnt 0x0
	v_mul_f32_e32 v0, s0, v15
	s_add_co_i32 s18, s18, 12
	s_add_co_i32 s19, s19, 12
	s_cmp_lg_u32 s14, 0
	s_delay_alu instid0(VALU_DEP_1) | instskip(NEXT) | instid1(VALU_DEP_1)
	v_xor_b32_e32 v1, 0x80000000, v0
	v_cndmask_b32_e32 v0, v0, v1, vcc_lo
	global_store_b32 v14, v0, s[4:5] offset:4 scale_offset
	s_cbranch_scc1 .LBB1_13
.LBB1_14:
	s_and_not1_b32 vcc_lo, exec_lo, s25
	s_cbranch_vccnz .LBB1_17
; %bb.15:
	s_mul_i32 s0, s15, s2
	s_delay_alu instid0(SALU_CYCLE_1)
	s_sub_co_i32 s1, s0, s2
	s_mul_i32 s8, s0, 12
	s_mul_i32 s1, s1, 12
	s_wait_xcnt 0x0
	v_dual_mov_b32 v22, s8 :: v_dual_mov_b32 v0, s1
	s_clause 0x1
	global_load_b32 v23, v22, s[4:5] offset:16 scale_offset
	global_load_b32 v24, v0, s[4:5] offset:12 scale_offset
	s_wait_loadcnt 0x0
	v_cvt_f64_f32_e64 v[0:1], |v24|
	s_delay_alu instid0(VALU_DEP_1) | instskip(SKIP_1) | instid1(VALU_DEP_1)
	v_frexp_exp_i32_f64_e32 v0, v[0:1]
	v_frexp_mant_f32_e64 v1, |v24|
	v_readfirstlane_b32 s0, v1
	s_cmp_lt_f32 s0, 0x3f2aaaab
	s_cselect_b32 vcc_lo, -1, 0
	s_delay_alu instid0(SALU_CYCLE_1) | instskip(SKIP_1) | instid1(SALU_CYCLE_1)
	s_and_b32 s1, vcc_lo, exec_lo
	s_cselect_b32 s1, 2.0, 1.0
	s_mul_f32 s0, s0, s1
	s_delay_alu instid0(SALU_CYCLE_3) | instskip(SKIP_1) | instid1(SALU_CYCLE_2)
	s_add_f32 s1, s0, 1.0
	s_add_f32 s14, s0, -1.0
	v_s_rcp_f32 s9, s1
	s_add_f32 s17, s1, -1.0
	v_subrev_co_ci_u32_e64 v11, null, 0, v0, vcc_lo
	s_delay_alu instid0(SALU_CYCLE_2) | instskip(NEXT) | instid1(TRANS32_DEP_1)
	s_sub_f32 s0, s0, s17
	s_mul_f32 s15, s14, s9
	s_delay_alu instid0(SALU_CYCLE_3) | instskip(NEXT) | instid1(SALU_CYCLE_3)
	s_mul_f32 s16, s1, s15
	v_dual_mov_b32 v1, s14 :: v_dual_mov_b32 v2, s16
	s_xor_b32 s18, s16, 0x80000000
	s_delay_alu instid0(SALU_CYCLE_1) | instskip(NEXT) | instid1(SALU_CYCLE_3)
	s_fmac_f32 s18, s15, s1
	s_fmac_f32 s18, s15, s0
	s_delay_alu instid0(SALU_CYCLE_3) | instskip(NEXT) | instid1(SALU_CYCLE_3)
	s_add_f32 s0, s16, s18
	v_dual_mov_b32 v4, s18 :: v_dual_mov_b32 v5, s0
	s_sub_f32 s1, s14, s0
	s_delay_alu instid0(SALU_CYCLE_3) | instskip(NEXT) | instid1(VALU_DEP_1)
	v_dual_mov_b32 v0, s0 :: v_dual_mov_b32 v3, s1
	v_pk_add_f32 v[0:1], v[0:1], v[2:3] neg_lo:[0,1] neg_hi:[0,1]
	v_cvt_f64_f32_e64 v[2:3], |v23|
	s_delay_alu instid0(VALU_DEP_2) | instskip(NEXT) | instid1(VALU_DEP_1)
	v_pk_add_f32 v[0:1], v[0:1], v[4:5] neg_lo:[0,1] neg_hi:[0,1]
	v_readfirstlane_b32 s0, v1
	s_delay_alu instid0(VALU_DEP_2) | instskip(SKIP_2) | instid1(SALU_CYCLE_3)
	v_readfirstlane_b32 s14, v0
	v_frexp_mant_f32_e64 v1, |v23|
	s_add_f32 s0, s14, s0
	s_add_f32 s0, s1, s0
	s_delay_alu instid0(SALU_CYCLE_3) | instskip(NEXT) | instid1(SALU_CYCLE_3)
	s_mul_f32 s1, s9, s0
	s_add_f32 s0, s15, s1
	s_delay_alu instid0(SALU_CYCLE_3) | instskip(SKIP_2) | instid1(SALU_CYCLE_1)
	s_sub_f32 s9, s0, s15
	s_mul_f32 s15, s0, s0
	v_frexp_exp_i32_f64_e32 v0, v[2:3]
	s_sub_f32 s20, s1, s9
	s_delay_alu instid0(SALU_CYCLE_1) | instskip(NEXT) | instid1(SALU_CYCLE_1)
	s_xor_b32 s1, s15, 0x80000000
	s_fmac_f32 s1, s0, s0
	s_delay_alu instid0(SALU_CYCLE_1) | instskip(NEXT) | instid1(SALU_CYCLE_3)
	s_add_f32 s9, s20, s20
	s_fmac_f32 s1, s0, s9
	s_mov_b32 s9, 0x3e76c4e1
	s_delay_alu instid0(SALU_CYCLE_2) | instskip(NEXT) | instid1(SALU_CYCLE_3)
	s_add_f32 s14, s15, s1
	s_fmaak_f32 s16, s14, s9, 0x3e91f4c4
	s_sub_f32 s15, s14, s15
	s_delay_alu instid0(SALU_CYCLE_2) | instskip(SKIP_1) | instid1(SALU_CYCLE_2)
	s_fmaak_f32 s17, s14, s16, 0x3ecccdef
	v_readfirstlane_b32 s16, v1
	s_mul_f32 s19, s14, s17
	s_delay_alu instid0(SALU_CYCLE_3) | instskip(SKIP_3) | instid1(SALU_CYCLE_1)
	s_xor_b32 s21, s19, 0x80000000
	s_cmp_lt_f32 s16, 0x3f2aaaab
	s_fmac_f32 s21, s14, s17
	s_cselect_b32 vcc_lo, -1, 0
	s_and_b32 s18, vcc_lo, exec_lo
	s_cselect_b32 s18, 2.0, 1.0
	v_subrev_co_ci_u32_e64 v21, null, 0, v0, vcc_lo
	s_mul_f32 s16, s16, s18
	s_delay_alu instid0(SALU_CYCLE_3) | instskip(SKIP_1) | instid1(SALU_CYCLE_2)
	s_add_f32 s18, s16, 1.0
	s_add_f32 s23, s16, -1.0
	v_s_rcp_f32 s22, s18
	s_add_f32 s27, s18, -1.0
	s_delay_alu instid0(SALU_CYCLE_3) | instskip(NEXT) | instid1(TRANS32_DEP_1)
	s_sub_f32 s16, s16, s27
	s_mul_f32 s25, s23, s22
	s_delay_alu instid0(SALU_CYCLE_3) | instskip(NEXT) | instid1(SALU_CYCLE_3)
	s_mul_f32 s26, s18, s25
	v_dual_mov_b32 v1, s23 :: v_dual_mov_b32 v2, s26
	s_xor_b32 s28, s26, 0x80000000
	s_delay_alu instid0(SALU_CYCLE_1) | instskip(NEXT) | instid1(SALU_CYCLE_3)
	s_fmac_f32 s28, s25, s18
	s_fmac_f32 s28, s25, s16
	s_delay_alu instid0(SALU_CYCLE_3) | instskip(SKIP_2) | instid1(SALU_CYCLE_1)
	s_add_f32 s16, s26, s28
	v_mov_b32_e32 v4, s28
	s_sub_f32 s26, s1, s15
	s_sub_f32 s18, s23, s16
	v_dual_mov_b32 v0, s16 :: v_dual_mov_b32 v5, s16
	s_delay_alu instid0(SALU_CYCLE_1) | instskip(NEXT) | instid1(SALU_CYCLE_1)
	s_fmac_f32 s21, s26, s17
	v_mov_b32_e32 v3, s18
	s_delay_alu instid0(SALU_CYCLE_2) | instskip(NEXT) | instid1(VALU_DEP_1)
	s_add_f32 s15, s19, s21
	v_pk_add_f32 v[0:1], v[0:1], v[2:3] neg_lo:[0,1] neg_hi:[0,1]
	s_delay_alu instid0(SALU_CYCLE_2) | instskip(NEXT) | instid1(VALU_DEP_1)
	s_sub_f32 s19, s15, s19
	v_pk_add_f32 v[0:1], v[0:1], v[4:5] neg_lo:[0,1] neg_hi:[0,1]
	s_delay_alu instid0(SALU_CYCLE_2) | instskip(NEXT) | instid1(VALU_DEP_1)
	s_sub_f32 s19, s21, s19
	v_readfirstlane_b32 s16, v1
	s_delay_alu instid0(VALU_DEP_2) | instskip(SKIP_1) | instid1(SALU_CYCLE_3)
	v_readfirstlane_b32 s23, v0
	s_add_f32 s16, s23, s16
	s_add_f32 s16, s18, s16
	s_delay_alu instid0(SALU_CYCLE_3) | instskip(NEXT) | instid1(SALU_CYCLE_3)
	s_mul_f32 s18, s22, s16
	s_add_f32 s16, s25, s18
	s_delay_alu instid0(SALU_CYCLE_3) | instskip(SKIP_1) | instid1(SALU_CYCLE_2)
	s_sub_f32 s22, s16, s25
	s_mul_f32 s23, s16, s16
	s_sub_f32 s22, s18, s22
	s_delay_alu instid0(SALU_CYCLE_2) | instskip(NEXT) | instid1(SALU_CYCLE_1)
	s_xor_b32 s25, s23, 0x80000000
	s_fmac_f32 s25, s16, s16
	s_delay_alu instid0(SALU_CYCLE_1) | instskip(NEXT) | instid1(SALU_CYCLE_3)
	s_add_f32 s18, s22, s22
	s_fmac_f32 s25, s16, s18
	s_delay_alu instid0(SALU_CYCLE_3) | instskip(NEXT) | instid1(SALU_CYCLE_3)
	s_add_f32 s18, s23, s25
	s_fmaak_f32 s1, s18, s9, 0x3e91f4c4
	s_sub_f32 s23, s18, s23
	s_delay_alu instid0(SALU_CYCLE_2) | instskip(NEXT) | instid1(SALU_CYCLE_2)
	s_fmaak_f32 s1, s18, s1, 0x3ecccdef
	s_sub_f32 s23, s25, s23
	s_add_f32 s25, s15, 0x3f2aaaaa
	s_delay_alu instid0(SALU_CYCLE_1) | instskip(NEXT) | instid1(SALU_CYCLE_2)
	s_mul_f32 s17, s18, s1
	s_add_f32 s21, s25, 0xbf2aaaaa
	s_delay_alu instid0(SALU_CYCLE_2) | instskip(NEXT) | instid1(SALU_CYCLE_1)
	s_xor_b32 s27, s17, 0x80000000
	s_fmac_f32 s27, s18, s1
	s_delay_alu instid0(SALU_CYCLE_1) | instskip(NEXT) | instid1(SALU_CYCLE_2)
	s_sub_f32 s15, s15, s21
	s_fmac_f32 s27, s23, s1
	s_add_f32 s1, s19, 0x31739010
	s_delay_alu instid0(SALU_CYCLE_1) | instskip(NEXT) | instid1(SALU_CYCLE_1)
	v_mov_b64_e32 v[2:3], s[14:15]
	s_add_f32 s19, s17, s27
	s_delay_alu instid0(SALU_CYCLE_1) | instskip(NEXT) | instid1(SALU_CYCLE_2)
	v_mov_b64_e32 v[0:1], s[0:1]
	s_sub_f32 s1, s19, s17
	s_add_f32 s21, s19, 0x3f2aaaaa
	s_delay_alu instid0(SALU_CYCLE_2) | instskip(NEXT) | instid1(SALU_CYCLE_2)
	s_sub_f32 s1, s27, s1
	s_add_f32 s15, s21, 0xbf2aaaaa
	s_delay_alu instid0(VALU_DEP_1)
	v_pk_mul_f32 v[6:7], v[0:1], v[2:3]
	v_pk_add_f32 v[0:1], v[0:1], v[2:3]
	s_add_f32 s17, s1, 0x31739010
	s_sub_f32 s19, s19, s15
	v_cvt_f32_i32_e32 v3, v11
	v_xor_b32_e32 v10, 0x80000000, v6
	v_mov_b64_e32 v[4:5], s[16:17]
	v_mov_b64_e32 v[8:9], s[18:19]
	v_dual_mov_b32 v11, s25 :: v_dual_mov_b32 v7, v1
	s_delay_alu instid0(VALU_DEP_4) | instskip(SKIP_3) | instid1(VALU_DEP_4)
	v_fmac_f32_e64 v10, s14, s0
	v_dual_mul_f32 v2, 0x3f317218, v3 :: v_dual_mov_b32 v15, s21
	v_readfirstlane_b32 s17, v24
	v_pk_mul_f32 v[12:13], v[4:5], v[8:9]
	v_fmac_f32_e64 v10, s14, s20
	v_pk_add_f32 v[4:5], v[4:5], v[8:9]
	v_xor_b32_e32 v4, 0x80000000, v2
	s_delay_alu instid0(VALU_DEP_4) | instskip(NEXT) | instid1(VALU_DEP_4)
	v_xor_b32_e32 v14, 0x80000000, v12
	v_fmac_f32_e64 v10, s26, s0
	s_delay_alu instid0(VALU_DEP_2) | instskip(NEXT) | instid1(VALU_DEP_2)
	v_fmac_f32_e64 v14, s18, s16
	v_pk_add_f32 v[8:9], v[6:7], v[10:11]
	v_dual_mov_b32 v13, v5 :: v_dual_fmac_f32 v4, 0x3f317218, v3
	v_cvt_f32_i32_e32 v7, v21
	s_delay_alu instid0(VALU_DEP_4) | instskip(NEXT) | instid1(VALU_DEP_4)
	v_fmac_f32_e64 v14, s18, s22
	v_dual_mov_b32 v0, v9 :: v_dual_sub_f32 v11, v8, v6
	s_delay_alu instid0(VALU_DEP_4) | instskip(NEXT) | instid1(VALU_DEP_3)
	v_dual_fmac_f32 v4, 0xb102e308, v3 :: v_dual_sub_f32 v3, s25, v9
	v_fmac_f32_e64 v14, s23, s16
	s_delay_alu instid0(VALU_DEP_3) | instskip(NEXT) | instid1(VALU_DEP_2)
	v_pk_mul_f32 v[18:19], v[8:9], v[0:1]
	v_pk_add_f32 v[16:17], v[12:13], v[14:15]
	s_delay_alu instid0(VALU_DEP_2) | instskip(SKIP_2) | instid1(VALU_DEP_3)
	v_xor_b32_e32 v20, 0x80000000, v18
	v_add_f32_e32 v3, v1, v3
	v_mul_f32_e32 v6, 0x3f317218, v7
	v_dual_mov_b32 v0, v17 :: v_dual_fmac_f32 v20, v8, v9
	s_delay_alu instid0(VALU_DEP_1) | instskip(SKIP_1) | instid1(VALU_DEP_3)
	v_pk_mul_f32 v[0:1], v[16:17], v[0:1]
	v_dual_sub_f32 v1, v10, v11 :: v_dual_sub_f32 v10, s21, v17
	v_fmac_f32_e32 v20, v8, v3
	v_sub_f32_e32 v3, v16, v12
	s_delay_alu instid0(VALU_DEP_4) | instskip(SKIP_2) | instid1(VALU_DEP_4)
	v_xor_b32_e32 v26, 0x80000000, v0
	v_xor_b32_e32 v8, 0x80000000, v6
	v_add_f32_e32 v10, v5, v10
	v_dual_fmac_f32 v20, v1, v9 :: v_dual_sub_f32 v1, v14, v3
	s_delay_alu instid0(VALU_DEP_4) | instskip(SKIP_1) | instid1(VALU_DEP_3)
	v_fmac_f32_e32 v26, v16, v17
	v_ldexp_f32 v5, s0, 1
	v_dual_fmac_f32 v8, 0x3f317218, v7 :: v_dual_add_f32 v3, v18, v20
	v_ldexp_f32 v9, s16, 1
	s_delay_alu instid0(VALU_DEP_3) | instskip(SKIP_1) | instid1(VALU_DEP_4)
	v_dual_fmac_f32 v26, v16, v10 :: v_dual_mov_b32 v19, v5
	v_readfirstlane_b32 s16, v23
	v_pk_add_f32 v[10:11], v[2:3], v[4:5]
	s_delay_alu instid0(VALU_DEP_3) | instskip(SKIP_1) | instid1(VALU_DEP_3)
	v_dual_mov_b32 v14, v3 :: v_dual_fmac_f32 v26, v1, v17
	v_dual_fmac_f32 v8, 0xb102e308, v7 :: v_dual_mov_b32 v21, v3
	v_mov_b32_e32 v15, v11
	v_ldexp_f32 v3, s20, 1
	s_delay_alu instid0(VALU_DEP_4) | instskip(SKIP_1) | instid1(VALU_DEP_4)
	v_dual_add_f32 v7, v0, v26 :: v_dual_mov_b32 v1, v9
	v_ldexp_f32 v5, s22, 1
	v_pk_add_f32 v[14:15], v[14:15], v[18:19] neg_lo:[0,1] neg_hi:[0,1]
	v_mov_b32_e32 v32, v11
	s_delay_alu instid0(VALU_DEP_4) | instskip(SKIP_1) | instid1(VALU_DEP_4)
	v_pk_add_f32 v[12:13], v[6:7], v[8:9]
	v_dual_mov_b32 v16, v7 :: v_dual_mov_b32 v27, v7
	v_pk_add_f32 v[14:15], v[20:21], v[14:15] neg_lo:[0,1] neg_hi:[0,1]
	s_cmp_eq_f32 s16, 1.0
	s_delay_alu instid0(VALU_DEP_3) | instskip(SKIP_2) | instid1(VALU_DEP_1)
	v_dual_mov_b32 v17, v13 :: v_dual_mov_b32 v9, v12
	s_cselect_b32 s14, 1.0, 2.0
	s_cmp_eq_f32 s17, 1.0
	v_pk_add_f32 v[0:1], v[16:17], v[0:1] neg_lo:[0,1] neg_hi:[0,1]
	s_cselect_b32 s15, 1.0, 2.0
	s_delay_alu instid0(VALU_DEP_1) | instskip(NEXT) | instid1(VALU_DEP_1)
	v_pk_add_f32 v[0:1], v[26:27], v[0:1] neg_lo:[0,1] neg_hi:[0,1]
	v_dual_add_f32 v3, v3, v14 :: v_dual_add_f32 v0, v5, v0
	s_delay_alu instid0(VALU_DEP_1) | instskip(NEXT) | instid1(VALU_DEP_1)
	v_dual_add_f32 v3, v3, v15 :: v_dual_mov_b32 v5, v10
	v_pk_add_f32 v[18:19], v[10:11], v[2:3]
	s_delay_alu instid0(VALU_DEP_3) | instskip(SKIP_1) | instid1(VALU_DEP_3)
	v_add_f32_e32 v7, v0, v1
	v_pk_add_f32 v[20:21], v[10:11], v[2:3] neg_lo:[0,1] neg_hi:[0,1]
	v_dual_mov_b32 v2, 0 :: v_dual_mov_b32 v21, v19
	s_delay_alu instid0(VALU_DEP_3)
	v_pk_add_f32 v[16:17], v[12:13], v[6:7]
	v_pk_add_f32 v[26:27], v[12:13], v[6:7] neg_lo:[0,1] neg_hi:[0,1]
	global_load_b64 v[0:1], v2, s[4:5] offset:12
	v_pk_add_f32 v[14:15], v[4:5], v[20:21]
	v_mov_b32_e32 v27, v17
	v_pk_add_f32 v[4:5], v[4:5], v[20:21] neg_lo:[0,1] neg_hi:[0,1]
	s_delay_alu instid0(VALU_DEP_3) | instskip(NEXT) | instid1(VALU_DEP_3)
	v_mov_b32_e32 v6, v15
	v_pk_add_f32 v[28:29], v[8:9], v[26:27]
	v_dual_mov_b32 v14, v19 :: v_dual_mov_b32 v5, v15
	s_delay_alu instid0(VALU_DEP_3) | instskip(NEXT) | instid1(VALU_DEP_3)
	v_pk_add_f32 v[30:31], v[6:7], v[10:11] neg_lo:[0,1] neg_hi:[0,1]
	v_dual_mov_b32 v6, v29 :: v_dual_mov_b32 v11, v10
	s_delay_alu instid0(VALU_DEP_2) | instskip(SKIP_1) | instid1(VALU_DEP_3)
	v_dual_mov_b32 v10, v3 :: v_dual_mov_b32 v25, v30
	v_mov_b32_e32 v33, v30
	v_pk_add_f32 v[20:21], v[6:7], v[12:13] neg_lo:[0,1] neg_hi:[0,1]
	v_mov_b32_e32 v28, v17
	s_delay_alu instid0(VALU_DEP_4) | instskip(NEXT) | instid1(VALU_DEP_4)
	v_pk_add_f32 v[18:19], v[18:19], v[24:25] neg_lo:[0,1] neg_hi:[0,1]
	v_pk_add_f32 v[30:31], v[14:15], v[32:33] neg_lo:[0,1] neg_hi:[0,1]
	s_delay_alu instid0(VALU_DEP_4) | instskip(SKIP_3) | instid1(VALU_DEP_4)
	v_dual_mov_b32 v32, v13 :: v_dual_mov_b32 v33, v20
	v_dual_mov_b32 v3, v20 :: v_dual_mov_b32 v18, v4
	;; [unrolled: 1-line block ×3, first 2 shown]
	v_pk_add_f32 v[6:7], v[8:9], v[26:27] neg_lo:[0,1] neg_hi:[0,1]
	v_pk_add_f32 v[8:9], v[28:29], v[32:33] neg_lo:[0,1] neg_hi:[0,1]
	;; [unrolled: 1-line block ×4, first 2 shown]
	v_dual_mov_b32 v14, v29 :: v_dual_mov_b32 v7, v29
	s_delay_alu instid0(VALU_DEP_4) | instskip(NEXT) | instid1(VALU_DEP_4)
	v_pk_add_f32 v[8:9], v[12:13], v[8:9] neg_lo:[0,1] neg_hi:[0,1]
	v_pk_add_f32 v[12:13], v[18:19], v[10:11]
	s_delay_alu instid0(VALU_DEP_1) | instskip(NEXT) | instid1(VALU_DEP_1)
	v_dual_mov_b32 v16, v6 :: v_dual_mov_b32 v19, v12
	v_pk_add_f32 v[16:17], v[16:17], v[8:9]
	s_delay_alu instid0(VALU_DEP_1) | instskip(NEXT) | instid1(VALU_DEP_2)
	v_dual_mov_b32 v21, v13 :: v_dual_mov_b32 v18, v16
	v_mov_b32_e32 v20, v17
	s_delay_alu instid0(VALU_DEP_1) | instskip(NEXT) | instid1(VALU_DEP_1)
	v_pk_add_f32 v[20:21], v[18:19], v[20:21]
	v_pk_add_f32 v[26:27], v[14:15], v[20:21]
	v_dual_mov_b32 v11, v21 :: v_dual_mov_b32 v9, v20
	s_delay_alu instid0(VALU_DEP_2) | instskip(NEXT) | instid1(VALU_DEP_1)
	v_dual_mov_b32 v17, v26 :: v_dual_mov_b32 v13, v27
	v_pk_add_f32 v[14:15], v[16:17], v[6:7] neg_lo:[0,1] neg_hi:[0,1]
	s_delay_alu instid0(VALU_DEP_2) | instskip(NEXT) | instid1(VALU_DEP_2)
	v_pk_add_f32 v[12:13], v[12:13], v[4:5] neg_lo:[0,1] neg_hi:[0,1]
	v_dual_mov_b32 v7, v4 :: v_dual_mov_b32 v16, v14
	s_delay_alu instid0(VALU_DEP_2) | instskip(NEXT) | instid1(VALU_DEP_4)
	v_mov_b32_e32 v17, v12
	v_pk_add_f32 v[4:5], v[8:9], v[14:15] neg_lo:[0,1] neg_hi:[0,1]
	s_delay_alu instid0(VALU_DEP_4) | instskip(NEXT) | instid1(VALU_DEP_3)
	v_pk_add_f32 v[8:9], v[10:11], v[12:13] neg_lo:[0,1] neg_hi:[0,1]
	v_pk_add_f32 v[10:11], v[18:19], v[16:17] neg_lo:[0,1] neg_hi:[0,1]
	s_delay_alu instid0(VALU_DEP_2) | instskip(NEXT) | instid1(VALU_DEP_4)
	v_dual_mov_b32 v12, v4 :: v_dual_mov_b32 v13, v8
	v_mov_b32_e32 v8, v5
	s_delay_alu instid0(VALU_DEP_3) | instskip(NEXT) | instid1(VALU_DEP_1)
	v_pk_add_f32 v[6:7], v[6:7], v[10:11] neg_lo:[0,1] neg_hi:[0,1]
	v_pk_add_f32 v[4:5], v[12:13], v[6:7]
	s_delay_alu instid0(VALU_DEP_1) | instskip(SKIP_1) | instid1(VALU_DEP_2)
	v_pk_add_f32 v[4:5], v[4:5], v[8:9]
	v_mov_b64_e32 v[8:9], s[14:15]
	v_pk_add_f32 v[6:7], v[26:27], v[4:5]
	s_delay_alu instid0(VALU_DEP_1) | instskip(NEXT) | instid1(VALU_DEP_3)
	v_pk_add_f32 v[10:11], v[6:7], v[26:27] neg_lo:[0,1] neg_hi:[0,1]
	v_pk_mul_f32 v[12:13], v[8:9], v[6:7]
	s_delay_alu instid0(VALU_DEP_2) | instskip(NEXT) | instid1(VALU_DEP_2)
	v_pk_add_f32 v[4:5], v[4:5], v[10:11] neg_lo:[0,1] neg_hi:[0,1]
	v_pk_fma_f32 v[6:7], v[8:9], v[6:7], v[12:13] neg_lo:[0,0,1] neg_hi:[0,0,1]
	v_readfirstlane_b32 s0, v12
	s_delay_alu instid0(VALU_DEP_2) | instskip(NEXT) | instid1(VALU_DEP_2)
	v_pk_fma_f32 v[4:5], v[8:9], v[4:5], v[6:7]
	v_cmp_class_f32_e64 s1, s0, 0x204
	s_delay_alu instid0(VALU_DEP_2) | instskip(SKIP_1) | instid1(VALU_DEP_1)
	v_pk_add_f32 v[6:7], v[12:13], v[4:5]
	s_and_b32 s1, s1, exec_lo
	v_readfirstlane_b32 s18, v6
	s_delay_alu instid0(VALU_DEP_2) | instskip(SKIP_1) | instid1(VALU_DEP_1)
	v_pk_add_f32 v[8:9], v[6:7], v[12:13] neg_lo:[0,1] neg_hi:[0,1]
	s_cselect_b32 s0, s0, s18
	v_pk_add_f32 v[4:5], v[4:5], v[8:9] neg_lo:[0,1] neg_hi:[0,1]
	s_and_b32 s1, s0, 0x7fffffff
	s_delay_alu instid0(SALU_CYCLE_1) | instskip(SKIP_3) | instid1(SALU_CYCLE_1)
	s_cmp_neq_f32 s1, 0x7f800000
	s_cselect_b32 vcc_lo, -1, 0
	s_cmp_eq_f32 s0, 0x42b17218
	s_cselect_b32 s1, 0x37000000, 0
	s_sub_f32 s18, s0, s1
	s_delay_alu instid0(SALU_CYCLE_3) | instskip(NEXT) | instid1(SALU_CYCLE_3)
	s_mul_f32 s0, s18, 0x3fb8aa3b
	s_xor_b32 s19, s0, 0x80000000
	s_rndne_f32 s20, s0
	s_fmamk_f32 s19, s18, 0x3fb8aa3b, s19
	s_cmp_nlt_f32 s18, 0xc2ce8ed0
	s_delay_alu instid0(SALU_CYCLE_1) | instskip(NEXT) | instid1(SALU_CYCLE_1)
	s_sub_f32 s0, s0, s20
	s_fmamk_f32 s19, s18, 0x32a5705f, s19
	s_delay_alu instid0(SALU_CYCLE_3) | instskip(SKIP_2) | instid1(SALU_CYCLE_1)
	s_add_f32 s0, s0, s19
	s_cvt_i32_f32 s19, s20
	s_trunc_f32 s20, s14
	v_s_exp_f32 s0, s0
	v_nop
	s_delay_alu instid0(TRANS32_DEP_1) | instskip(SKIP_3) | instid1(VALU_DEP_1)
	v_ldexp_f32 v3, s0, s19
	s_cselect_b32 s0, -1, 0
	s_cmp_ngt_f32 s18, 0x42b17218
	s_mul_f32 s18, s14, 0.5
	v_dual_cndmask_b32 v4, 0, v4, vcc_lo :: v_dual_cndmask_b32 v3, 0, v3, s0
	s_cselect_b32 vcc_lo, -1, 0
	s_cmp_eq_f32 s20, s14
	s_trunc_f32 s0, s18
	s_delay_alu instid0(VALU_DEP_1)
	v_add_f32_e32 v4, s1, v4
	v_cndmask_b32_e32 v3, 0x7f800000, v3, vcc_lo
	s_cselect_b32 s1, -1, 0
	s_cmp_neq_f32 s0, s18
	v_readfirstlane_b32 s18, v7
	s_cselect_b32 s0, -1, 0
	s_delay_alu instid0(SALU_CYCLE_1) | instskip(SKIP_3) | instid1(VALU_DEP_1)
	s_and_b32 vcc_lo, s1, s0
	v_cmp_class_f32_e64 s0, v3, 0x204
	v_dual_cndmask_b32 v6, 1.0, v23, vcc_lo :: v_dual_fma_f32 v4, v3, v4, v3
	s_cmp_eq_f32 s20, s14
	v_cndmask_b32_e64 v3, v4, v3, s0
	v_readfirstlane_b32 s0, v13
	s_cselect_b32 s19, -1, 0
	s_delay_alu instid0(SALU_CYCLE_1) | instskip(SKIP_2) | instid1(VALU_DEP_2)
	s_and_b32 s19, s19, exec_lo
	v_bfi_b32 v3, 0x7fffffff, v3, v6
	v_cmp_class_f32_e64 s1, s0, 0x204
	v_readfirstlane_b32 s14, v3
	s_cselect_b32 s19, s14, 0x7fc00000
	s_and_b32 s1, s1, exec_lo
	s_cselect_b32 s1, s0, s18
	s_delay_alu instid0(SALU_CYCLE_1) | instskip(NEXT) | instid1(SALU_CYCLE_1)
	s_and_b32 s0, s1, 0x7fffffff
	s_cmp_neq_f32 s0, 0x7f800000
	s_cselect_b32 s0, -1, 0
	s_cmp_eq_f32 s1, 0x42b17218
	v_cndmask_b32_e64 v4, 0, v5, s0
	s_cselect_b32 s18, 0x37000000, 0
	s_delay_alu instid0(SALU_CYCLE_1) | instskip(NEXT) | instid1(VALU_DEP_1)
	s_sub_f32 s20, s1, s18
	v_add_f32_e32 v4, s18, v4
	s_delay_alu instid0(SALU_CYCLE_2) | instskip(NEXT) | instid1(SALU_CYCLE_3)
	s_mul_f32 s1, s20, 0x3fb8aa3b
	s_xor_b32 s21, s1, 0x80000000
	s_rndne_f32 s22, s1
	s_fmamk_f32 s21, s20, 0x3fb8aa3b, s21
	s_cmp_nlt_f32 s20, 0xc2ce8ed0
	s_delay_alu instid0(SALU_CYCLE_1) | instskip(NEXT) | instid1(SALU_CYCLE_1)
	s_sub_f32 s1, s1, s22
	s_fmamk_f32 s21, s20, 0x32a5705f, s21
	s_delay_alu instid0(SALU_CYCLE_3) | instskip(SKIP_2) | instid1(SALU_CYCLE_1)
	s_add_f32 s1, s1, s21
	s_cvt_i32_f32 s21, s22
	s_trunc_f32 s22, s15
	v_s_exp_f32 s1, s1
	v_nop
	s_delay_alu instid0(TRANS32_DEP_1) | instskip(SKIP_3) | instid1(VALU_DEP_1)
	v_ldexp_f32 v3, s1, s21
	s_cselect_b32 s1, -1, 0
	s_cmp_ngt_f32 s20, 0x42b17218
	s_mul_f32 s20, s15, 0.5
	v_cndmask_b32_e64 v3, 0, v3, s1
	s_cselect_b32 s0, -1, 0
	s_cmp_eq_f32 s22, s15
	s_trunc_f32 s1, s20
	s_delay_alu instid0(VALU_DEP_1) | instskip(SKIP_1) | instid1(SALU_CYCLE_1)
	v_cndmask_b32_e64 v3, 0x7f800000, v3, s0
	s_cselect_b32 s18, -1, 0
	s_cmp_neq_f32 s1, s20
	s_delay_alu instid0(VALU_DEP_1) | instskip(SKIP_2) | instid1(SALU_CYCLE_1)
	v_fma_f32 v4, v3, v4, v3
	v_cmp_class_f32_e64 s1, v3, 0x204
	s_cselect_b32 s0, -1, 0
	s_and_b32 s0, s18, s0
	s_cmp_eq_f32 s22, s15
	v_dual_cndmask_b32 v5, 1.0, v24, s0 :: v_dual_cndmask_b32 v3, v4, v3, s1
	v_cmp_class_f32_e64 s18, v24, 0x204
	s_cselect_b32 s15, -1, 0
	global_load_b32 v4, v2, s[6:7] offset:4
	s_and_b32 s15, s15, exec_lo
	v_bfi_b32 v3, 0x7fffffff, v3, v5
	s_delay_alu instid0(VALU_DEP_1) | instskip(SKIP_4) | instid1(SALU_CYCLE_1)
	v_readfirstlane_b32 s1, v3
	v_cndmask_b32_e64 v3, 0, v24, s0
	s_cselect_b32 s15, s1, 0x7fc00000
	s_cmp_eq_f32 s17, 0
	s_cselect_b32 s0, -1, 0
	s_and_b32 s20, s0, exec_lo
	s_cselect_b32 s20, 0, 0x7f800000
	s_or_b32 s0, s0, s18
	v_bfi_b32 v3, 0x7fffffff, s20, v3
	s_cmp_lt_f32 s17, 0
	s_delay_alu instid0(VALU_DEP_1)
	v_readfirstlane_b32 s18, v3
	s_cselect_b32 s1, s15, s1
	s_and_b32 s0, s0, exec_lo
	v_cndmask_b32_e32 v3, 0, v23, vcc_lo
	s_cselect_b32 s0, s18, s1
	s_cmp_o_f32 s17, s17
	s_wait_loadcnt 0x1
	v_readfirstlane_b32 s18, v0
	s_cselect_b32 s0, s0, 0x7fc00000
	s_cmp_lt_f32 s16, 0
	v_cvt_f64_f32_e64 v[6:7], |s18|
	s_cselect_b32 s1, s19, s14
	s_cmp_eq_f32 s16, 0
	s_cselect_b32 s14, -1, 0
	s_delay_alu instid0(SALU_CYCLE_1) | instskip(SKIP_1) | instid1(SALU_CYCLE_1)
	s_and_b32 s15, s14, exec_lo
	s_cselect_b32 s15, 0, 0x7f800000
	v_bfi_b32 v3, 0x7fffffff, s15, v3
	v_cmp_class_f32_e64 s15, v23, 0x204
	s_delay_alu instid0(VALU_DEP_2)
	v_readfirstlane_b32 s17, v3
	s_or_b32 s14, s14, s15
	v_frexp_mant_f32_e64 v3, |s18|
	s_and_b32 s14, s14, exec_lo
	s_cselect_b32 s1, s17, s1
	s_cmp_o_f32 s16, s16
	s_cselect_b32 s1, s1, 0x7fc00000
	s_delay_alu instid0(SALU_CYCLE_1) | instskip(SKIP_1) | instid1(SALU_CYCLE_2)
	s_add_f32 s0, s0, s1
	v_frexp_exp_i32_f64_e32 v0, v[6:7]
	s_mul_f32 s1, s0, 0x4f800000
	s_cmp_lt_f32 s0, 0xf800000
	s_delay_alu instid0(SALU_CYCLE_2) | instskip(NEXT) | instid1(SALU_CYCLE_1)
	s_cselect_b32 s16, s1, s0
	v_s_sqrt_f32 s1, s16
	s_mov_b32 s15, s16
	s_delay_alu instid0(TRANS32_DEP_1) | instskip(NEXT) | instid1(SALU_CYCLE_1)
	s_add_co_i32 s14, s1, -1
	s_xor_b32 s17, s14, 0x80000000
	s_delay_alu instid0(SALU_CYCLE_1) | instskip(SKIP_1) | instid1(SALU_CYCLE_2)
	s_fmac_f32 s15, s17, s1
	s_mov_b32 s17, s16
	s_cmp_le_f32 s15, 0
	s_cselect_b32 s14, s14, s1
	s_add_co_i32 s15, s1, 1
	s_delay_alu instid0(SALU_CYCLE_1) | instskip(NEXT) | instid1(SALU_CYCLE_1)
	s_xor_b32 s19, s15, 0x80000000
	s_fmac_f32 s17, s19, s1
	v_readfirstlane_b32 s1, v3
	s_delay_alu instid0(SALU_CYCLE_2) | instskip(SKIP_3) | instid1(SALU_CYCLE_3)
	s_cmp_gt_f32 s17, 0
	s_cselect_b32 s14, s15, s14
	s_cmp_lt_f32 s0, 0xf800000
	s_mul_f32 s0, s14, 0x37800000
	s_cselect_b32 s17, s0, s14
	s_cmp_lt_f32 s1, 0x3f2aaaab
	s_cselect_b32 vcc_lo, -1, 0
	s_delay_alu instid0(SALU_CYCLE_1) | instskip(SKIP_4) | instid1(SALU_CYCLE_2)
	s_and_b32 s0, vcc_lo, exec_lo
	s_cselect_b32 s0, 2.0, 1.0
	v_subrev_co_ci_u32_e64 v3, null, 0, v0, vcc_lo
	s_mul_f32 s0, s1, s0
	v_cvt_f32_i32_e32 v3, v3
	s_add_f32 s1, s0, 1.0
	s_add_f32 s15, s0, -1.0
	s_delay_alu instid0(SALU_CYCLE_2) | instskip(SKIP_1) | instid1(SALU_CYCLE_1)
	v_s_rcp_f32 s14, s1
	s_add_f32 s21, s1, -1.0
	v_mov_b32_e32 v7, s15
	s_delay_alu instid0(SALU_CYCLE_2) | instskip(NEXT) | instid1(TRANS32_DEP_1)
	s_sub_f32 s0, s0, s21
	s_mul_f32 s20, s15, s14
	s_delay_alu instid0(SALU_CYCLE_3) | instskip(NEXT) | instid1(SALU_CYCLE_3)
	s_mul_f32 s19, s1, s20
	s_xor_b32 s22, s19, 0x80000000
	v_mov_b32_e32 v8, s19
	s_fmac_f32 s22, s20, s1
	s_delay_alu instid0(SALU_CYCLE_3) | instskip(NEXT) | instid1(SALU_CYCLE_3)
	s_fmac_f32 s22, s20, s0
	s_add_f32 s0, s19, s22
	v_mov_b32_e32 v10, s22
	v_readfirstlane_b32 s19, v1
	s_delay_alu instid0(SALU_CYCLE_1) | instskip(SKIP_1) | instid1(SALU_CYCLE_2)
	s_sub_f32 s1, s15, s0
	v_dual_mov_b32 v6, s0 :: v_dual_mov_b32 v11, s0
	v_mov_b32_e32 v9, s1
	s_delay_alu instid0(VALU_DEP_1) | instskip(NEXT) | instid1(VALU_DEP_1)
	v_pk_add_f32 v[6:7], v[6:7], v[8:9] neg_lo:[0,1] neg_hi:[0,1]
	v_pk_add_f32 v[0:1], v[6:7], v[10:11] neg_lo:[0,1] neg_hi:[0,1]
	v_cvt_f64_f32_e64 v[6:7], |s19|
	s_delay_alu instid0(VALU_DEP_2) | instskip(NEXT) | instid1(VALU_DEP_3)
	v_readfirstlane_b32 s0, v1
	v_readfirstlane_b32 s15, v0
	v_frexp_mant_f32_e64 v1, |s19|
	s_add_f32 s0, s15, s0
	s_delay_alu instid0(SALU_CYCLE_3) | instskip(NEXT) | instid1(SALU_CYCLE_3)
	s_add_f32 s0, s1, s0
	s_mul_f32 s1, s14, s0
	s_delay_alu instid0(SALU_CYCLE_3) | instskip(NEXT) | instid1(SALU_CYCLE_3)
	s_add_f32 s0, s20, s1
	s_sub_f32 s14, s0, s20
	s_mul_f32 s15, s0, s0
	s_delay_alu instid0(SALU_CYCLE_2) | instskip(NEXT) | instid1(SALU_CYCLE_2)
	s_sub_f32 s25, s1, s14
	s_xor_b32 s1, s15, 0x80000000
	v_frexp_exp_i32_f64_e32 v0, v[6:7]
	s_fmac_f32 s1, s0, s0
	s_add_f32 s14, s25, s25
	s_delay_alu instid0(SALU_CYCLE_3) | instskip(NEXT) | instid1(SALU_CYCLE_3)
	s_fmac_f32 s1, s0, s14
	s_add_f32 s14, s15, s1
	s_delay_alu instid0(SALU_CYCLE_3) | instskip(SKIP_1) | instid1(SALU_CYCLE_2)
	s_fmaak_f32 s20, s14, s9, 0x3e91f4c4
	s_sub_f32 s15, s14, s15
	s_fmaak_f32 s21, s14, s20, 0x3ecccdef
	v_readfirstlane_b32 s20, v1
	s_delay_alu instid0(SALU_CYCLE_2) | instskip(NEXT) | instid1(SALU_CYCLE_3)
	s_mul_f32 s23, s14, s21
	s_xor_b32 s26, s23, 0x80000000
	s_cmp_lt_f32 s20, 0x3f2aaaab
	s_fmac_f32 s26, s14, s21
	s_cselect_b32 vcc_lo, -1, 0
	s_delay_alu instid0(SALU_CYCLE_1) | instskip(SKIP_4) | instid1(SALU_CYCLE_2)
	s_and_b32 s22, vcc_lo, exec_lo
	s_cselect_b32 s22, 2.0, 1.0
	v_subrev_co_ci_u32_e64 v5, null, 0, v0, vcc_lo
	s_mul_f32 s20, s20, s22
	v_cvt_f32_i32_e32 v5, v5
	s_add_f32 s22, s20, 1.0
	s_add_f32 s28, s20, -1.0
	s_delay_alu instid0(SALU_CYCLE_2) | instskip(SKIP_1) | instid1(SALU_CYCLE_3)
	v_s_rcp_f32 s27, s22
	s_add_f32 s31, s22, -1.0
	s_sub_f32 s20, s20, s31
	s_delay_alu instid0(TRANS32_DEP_1) | instskip(NEXT) | instid1(SALU_CYCLE_3)
	s_mul_f32 s29, s28, s27
	s_mul_f32 s30, s22, s29
	s_delay_alu instid0(SALU_CYCLE_3) | instskip(SKIP_1) | instid1(SALU_CYCLE_1)
	v_dual_mov_b32 v1, s28 :: v_dual_mov_b32 v6, s30
	s_xor_b32 s33, s30, 0x80000000
	s_fmac_f32 s33, s29, s22
	s_delay_alu instid0(SALU_CYCLE_3) | instskip(NEXT) | instid1(SALU_CYCLE_3)
	s_fmac_f32 s33, s29, s20
	s_add_f32 s20, s30, s33
	v_mov_b32_e32 v8, s33
	s_sub_f32 s30, s1, s15
	s_delay_alu instid0(SALU_CYCLE_1) | instskip(SKIP_1) | instid1(SALU_CYCLE_1)
	s_sub_f32 s22, s28, s20
	v_dual_mov_b32 v0, s20 :: v_dual_mov_b32 v9, s20
	s_fmac_f32 s26, s30, s21
	s_delay_alu instid0(SALU_CYCLE_1) | instskip(NEXT) | instid1(VALU_DEP_1)
	v_mov_b32_e32 v7, s22
	v_pk_add_f32 v[0:1], v[0:1], v[6:7] neg_lo:[0,1] neg_hi:[0,1]
	s_delay_alu instid0(VALU_DEP_1) | instskip(NEXT) | instid1(VALU_DEP_1)
	v_pk_add_f32 v[0:1], v[0:1], v[8:9] neg_lo:[0,1] neg_hi:[0,1]
	v_readfirstlane_b32 s20, v1
	s_delay_alu instid0(VALU_DEP_2) | instskip(SKIP_1) | instid1(SALU_CYCLE_3)
	v_readfirstlane_b32 s28, v0
	s_add_f32 s20, s28, s20
	s_add_f32 s20, s22, s20
	s_delay_alu instid0(SALU_CYCLE_3) | instskip(NEXT) | instid1(SALU_CYCLE_3)
	s_mul_f32 s22, s27, s20
	s_add_f32 s20, s29, s22
	s_delay_alu instid0(SALU_CYCLE_3) | instskip(SKIP_1) | instid1(SALU_CYCLE_2)
	s_sub_f32 s27, s20, s29
	s_mul_f32 s28, s20, s20
	s_sub_f32 s27, s22, s27
	s_delay_alu instid0(SALU_CYCLE_2) | instskip(NEXT) | instid1(SALU_CYCLE_1)
	s_xor_b32 s29, s28, 0x80000000
	s_fmac_f32 s29, s20, s20
	s_delay_alu instid0(SALU_CYCLE_1) | instskip(NEXT) | instid1(SALU_CYCLE_3)
	s_add_f32 s22, s27, s27
	s_fmac_f32 s29, s20, s22
	s_delay_alu instid0(SALU_CYCLE_3) | instskip(NEXT) | instid1(SALU_CYCLE_3)
	s_add_f32 s22, s28, s29
	s_fmaak_f32 s1, s22, s9, 0x3e91f4c4
	s_add_f32 s9, s23, s26
	s_sub_f32 s15, s22, s28
	s_delay_alu instid0(SALU_CYCLE_1) | instskip(NEXT) | instid1(SALU_CYCLE_1)
	s_fmaak_f32 s1, s22, s1, 0x3ecccdef
	s_sub_f32 s23, s9, s23
	s_delay_alu instid0(SALU_CYCLE_1) | instskip(SKIP_3) | instid1(SALU_CYCLE_1)
	s_sub_f32 s29, s29, s15
	s_add_f32 s31, s9, 0x3f2aaaaa
	s_mul_f32 s21, s22, s1
	s_sub_f32 s15, s26, s23
	s_add_f32 s23, s31, 0xbf2aaaaa
	s_delay_alu instid0(SALU_CYCLE_1) | instskip(SKIP_2) | instid1(SALU_CYCLE_3)
	s_xor_b32 s28, s21, 0x80000000
	s_cmp_eq_f32 s19, 1.0
	s_fmac_f32 s28, s22, s1
	s_fmac_f32 s28, s29, s1
	s_add_f32 s1, s15, 0x31739010
	s_sub_f32 s15, s9, s23
	s_delay_alu instid0(SALU_CYCLE_1) | instskip(NEXT) | instid1(SALU_CYCLE_1)
	s_add_f32 s26, s21, s28
	v_mov_b64_e32 v[0:1], s[0:1]
	s_delay_alu instid0(SALU_CYCLE_1) | instskip(NEXT) | instid1(SALU_CYCLE_1)
	v_mov_b64_e32 v[6:7], s[14:15]
	s_sub_f32 s1, s26, s21
	s_add_f32 s9, s26, 0x3f2aaaaa
	s_delay_alu instid0(SALU_CYCLE_2) | instskip(NEXT) | instid1(SALU_CYCLE_2)
	s_sub_f32 s1, s28, s1
	s_add_f32 s15, s9, 0xbf2aaaaa
	s_delay_alu instid0(VALU_DEP_1)
	v_pk_mul_f32 v[8:9], v[0:1], v[6:7]
	v_pk_add_f32 v[0:1], v[0:1], v[6:7]
	s_add_f32 s21, s1, 0x31739010
	s_sub_f32 s23, s26, s15
	v_mov_b32_e32 v15, s31
	v_xor_b32_e32 v14, 0x80000000, v8
	v_mov_b64_e32 v[10:11], s[20:21]
	v_mov_b64_e32 v[12:13], s[22:23]
	v_dual_mov_b32 v9, v1 :: v_dual_mul_f32 v0, 0x3f317218, v3
	v_mov_b32_e32 v7, s9
	v_fmac_f32_e64 v14, s14, s0
	s_cselect_b32 s15, 1.0, 2.0
	s_cmp_eq_f32 s18, 1.0
	s_delay_alu instid0(VALU_DEP_4)
	v_pk_mul_f32 v[16:17], v[10:11], v[12:13]
	v_pk_add_f32 v[10:11], v[10:11], v[12:13]
	v_fmac_f32_e64 v14, s14, s25
	v_xor_b32_e32 v10, 0x80000000, v0
	s_cselect_b32 s14, 1.0, 2.0
	v_xor_b32_e32 v6, 0x80000000, v16
	v_mov_b32_e32 v17, v11
	v_fmac_f32_e64 v14, s30, s0
	v_fmac_f32_e32 v10, 0x3f317218, v3
	s_delay_alu instid0(VALU_DEP_4) | instskip(NEXT) | instid1(VALU_DEP_3)
	v_fmac_f32_e64 v6, s22, s20
	v_pk_add_f32 v[12:13], v[8:9], v[14:15]
	s_delay_alu instid0(VALU_DEP_3) | instskip(NEXT) | instid1(VALU_DEP_3)
	v_fmac_f32_e32 v10, 0xb102e308, v3
	v_fmac_f32_e64 v6, s22, s27
	s_delay_alu instid0(VALU_DEP_3) | instskip(NEXT) | instid1(VALU_DEP_2)
	v_dual_mov_b32 v18, v13 :: v_dual_sub_f32 v3, s31, v13
	v_fmac_f32_e64 v6, s29, s20
	s_delay_alu instid0(VALU_DEP_2) | instskip(NEXT) | instid1(VALU_DEP_2)
	v_pk_mul_f32 v[18:19], v[12:13], v[18:19]
	v_pk_add_f32 v[20:21], v[16:17], v[6:7]
	v_sub_f32_e32 v7, v12, v8
	s_delay_alu instid0(VALU_DEP_3) | instskip(SKIP_1) | instid1(VALU_DEP_3)
	v_xor_b32_e32 v26, 0x80000000, v18
	v_add_f32_e32 v1, v1, v3
	v_dual_mov_b32 v24, v21 :: v_dual_sub_f32 v3, v14, v7
	s_delay_alu instid0(VALU_DEP_3) | instskip(SKIP_1) | instid1(VALU_DEP_3)
	v_fmac_f32_e32 v26, v12, v13
	v_sub_f32_e32 v7, s9, v21
	v_pk_mul_f32 v[8:9], v[20:21], v[24:25]
	v_mul_f32_e32 v24, 0x3f317218, v5
	s_delay_alu instid0(VALU_DEP_4) | instskip(NEXT) | instid1(VALU_DEP_4)
	v_fmac_f32_e32 v26, v12, v1
	v_dual_sub_f32 v1, v20, v16 :: v_dual_add_f32 v7, v11, v7
	s_delay_alu instid0(VALU_DEP_4) | instskip(NEXT) | instid1(VALU_DEP_4)
	v_xor_b32_e32 v14, 0x80000000, v8
	v_xor_b32_e32 v12, 0x80000000, v24
	s_delay_alu instid0(VALU_DEP_4)
	v_fmac_f32_e32 v26, v3, v13
	v_ldexp_f32 v11, s0, 1
	v_ldexp_f32 v13, s20, 1
	v_fmac_f32_e32 v14, v20, v21
	v_sub_f32_e32 v3, v6, v1
	v_dual_add_f32 v1, v18, v26 :: v_dual_fmac_f32 v12, 0x3f317218, v5
	s_delay_alu instid0(VALU_DEP_3) | instskip(SKIP_1) | instid1(VALU_DEP_3)
	v_dual_mov_b32 v19, v11 :: v_dual_fmac_f32 v14, v20, v7
	v_mov_b32_e32 v9, v13
	v_pk_add_f32 v[6:7], v[0:1], v[10:11]
	v_dual_mov_b32 v27, v1 :: v_dual_mov_b32 v16, v1
	s_delay_alu instid0(VALU_DEP_4) | instskip(NEXT) | instid1(VALU_DEP_3)
	v_fmac_f32_e32 v14, v3, v21
	v_dual_fmac_f32 v12, 0xb102e308, v5 :: v_dual_mov_b32 v17, v7
	v_ldexp_f32 v1, s25, 1
	v_ldexp_f32 v3, s27, 1
	s_delay_alu instid0(VALU_DEP_4) | instskip(NEXT) | instid1(VALU_DEP_4)
	v_dual_add_f32 v25, v8, v14 :: v_dual_mov_b32 v11, v6
	v_pk_add_f32 v[16:17], v[16:17], v[18:19] neg_lo:[0,1] neg_hi:[0,1]
	v_mov_b32_e32 v32, v7
	s_delay_alu instid0(VALU_DEP_3) | instskip(SKIP_1) | instid1(VALU_DEP_4)
	v_pk_add_f32 v[20:21], v[24:25], v[12:13]
	v_mov_b32_e32 v18, v25
	v_pk_add_f32 v[16:17], v[26:27], v[16:17] neg_lo:[0,1] neg_hi:[0,1]
	s_delay_alu instid0(VALU_DEP_3) | instskip(NEXT) | instid1(VALU_DEP_2)
	v_dual_mov_b32 v15, v25 :: v_dual_mov_b32 v19, v21
	v_dual_mov_b32 v13, v20 :: v_dual_add_f32 v1, v1, v16
	s_delay_alu instid0(VALU_DEP_2) | instskip(NEXT) | instid1(VALU_DEP_2)
	v_pk_add_f32 v[8:9], v[18:19], v[8:9] neg_lo:[0,1] neg_hi:[0,1]
	v_add_f32_e32 v1, v1, v17
	s_delay_alu instid0(VALU_DEP_2) | instskip(NEXT) | instid1(VALU_DEP_2)
	v_pk_add_f32 v[8:9], v[14:15], v[8:9] neg_lo:[0,1] neg_hi:[0,1]
	v_pk_add_f32 v[14:15], v[6:7], v[0:1]
	v_pk_add_f32 v[16:17], v[6:7], v[0:1] neg_lo:[0,1] neg_hi:[0,1]
	s_delay_alu instid0(VALU_DEP_3) | instskip(NEXT) | instid1(VALU_DEP_3)
	v_add_f32_e32 v3, v3, v8
	v_mov_b32_e32 v17, v15
	s_delay_alu instid0(VALU_DEP_2) | instskip(NEXT) | instid1(VALU_DEP_2)
	v_add_f32_e32 v25, v3, v9
	v_pk_add_f32 v[18:19], v[10:11], v[16:17]
	v_pk_add_f32 v[10:11], v[10:11], v[16:17] neg_lo:[0,1] neg_hi:[0,1]
	s_delay_alu instid0(VALU_DEP_3) | instskip(SKIP_1) | instid1(VALU_DEP_2)
	v_pk_add_f32 v[8:9], v[20:21], v[24:25]
	v_pk_add_f32 v[26:27], v[20:21], v[24:25] neg_lo:[0,1] neg_hi:[0,1]
	v_dual_mov_b32 v0, v19 :: v_dual_mov_b32 v27, v9
	s_delay_alu instid0(VALU_DEP_1) | instskip(SKIP_1) | instid1(VALU_DEP_3)
	v_pk_add_f32 v[30:31], v[0:1], v[6:7] neg_lo:[0,1] neg_hi:[0,1]
	v_dual_mov_b32 v7, v6 :: v_dual_mov_b32 v6, v1
	v_pk_add_f32 v[28:29], v[12:13], v[26:27]
	s_delay_alu instid0(VALU_DEP_3) | instskip(SKIP_1) | instid1(VALU_DEP_3)
	v_dual_mov_b32 v18, v15 :: v_dual_mov_b32 v3, v30
	v_dual_mov_b32 v33, v30 :: v_dual_mov_b32 v30, v21
	v_mov_b32_e32 v0, v29
	v_pk_add_f32 v[12:13], v[12:13], v[26:27] neg_lo:[0,1] neg_hi:[0,1]
	s_delay_alu instid0(VALU_DEP_4) | instskip(NEXT) | instid1(VALU_DEP_4)
	v_pk_add_f32 v[14:15], v[14:15], v[2:3] neg_lo:[0,1] neg_hi:[0,1]
	v_pk_add_f32 v[16:17], v[18:19], v[32:33] neg_lo:[0,1] neg_hi:[0,1]
	v_mov_b32_e32 v14, v10
	v_pk_add_f32 v[0:1], v[0:1], v[20:21] neg_lo:[0,1] neg_hi:[0,1]
	v_dual_mov_b32 v28, v9 :: v_dual_mov_b32 v21, v20
	v_mov_b32_e32 v20, v25
	v_pk_add_f32 v[6:7], v[6:7], v[16:17] neg_lo:[0,1] neg_hi:[0,1]
	s_delay_alu instid0(VALU_DEP_4) | instskip(SKIP_1) | instid1(VALU_DEP_3)
	v_dual_mov_b32 v31, v0 :: v_dual_mov_b32 v1, v0
	v_dual_mov_b32 v11, v19 :: v_dual_mov_b32 v13, v29
	v_pk_add_f32 v[14:15], v[14:15], v[6:7]
	s_delay_alu instid0(VALU_DEP_3) | instskip(NEXT) | instid1(VALU_DEP_4)
	v_pk_add_f32 v[24:25], v[28:29], v[30:31] neg_lo:[0,1] neg_hi:[0,1]
	v_pk_add_f32 v[0:1], v[8:9], v[0:1] neg_lo:[0,1] neg_hi:[0,1]
	v_dual_mov_b32 v0, v12 :: v_dual_mov_b32 v28, v19
	s_delay_alu instid0(VALU_DEP_4) | instskip(NEXT) | instid1(VALU_DEP_4)
	v_mov_b32_e32 v16, v14
	v_pk_add_f32 v[8:9], v[20:21], v[24:25] neg_lo:[0,1] neg_hi:[0,1]
	s_delay_alu instid0(VALU_DEP_1) | instskip(NEXT) | instid1(VALU_DEP_1)
	v_pk_add_f32 v[0:1], v[0:1], v[8:9]
	v_dual_mov_b32 v20, v15 :: v_dual_mov_b32 v17, v0
	s_delay_alu instid0(VALU_DEP_2) | instskip(NEXT) | instid1(VALU_DEP_1)
	v_mov_b32_e32 v21, v1
	v_pk_add_f32 v[20:21], v[16:17], v[20:21]
	s_delay_alu instid0(VALU_DEP_1) | instskip(SKIP_1) | instid1(VALU_DEP_2)
	v_pk_add_f32 v[24:25], v[28:29], v[20:21]
	v_dual_mov_b32 v7, v20 :: v_dual_mov_b32 v9, v21
	v_dual_mov_b32 v15, v24 :: v_dual_mov_b32 v1, v25
	s_delay_alu instid0(VALU_DEP_1) | instskip(NEXT) | instid1(VALU_DEP_2)
	v_pk_add_f32 v[14:15], v[14:15], v[10:11] neg_lo:[0,1] neg_hi:[0,1]
	v_pk_add_f32 v[0:1], v[0:1], v[12:13] neg_lo:[0,1] neg_hi:[0,1]
	v_mov_b32_e32 v11, v12
	s_delay_alu instid0(VALU_DEP_3) | instskip(NEXT) | instid1(VALU_DEP_3)
	v_pk_add_f32 v[6:7], v[6:7], v[14:15] neg_lo:[0,1] neg_hi:[0,1]
	v_mov_b32_e32 v15, v0
	s_delay_alu instid0(VALU_DEP_4) | instskip(NEXT) | instid1(VALU_DEP_3)
	v_pk_add_f32 v[0:1], v[8:9], v[0:1] neg_lo:[0,1] neg_hi:[0,1]
	v_mov_b32_e32 v12, v6
	s_delay_alu instid0(VALU_DEP_3) | instskip(NEXT) | instid1(VALU_DEP_3)
	v_pk_add_f32 v[8:9], v[16:17], v[14:15] neg_lo:[0,1] neg_hi:[0,1]
	v_dual_mov_b32 v13, v0 :: v_dual_mov_b32 v0, v7
	s_delay_alu instid0(VALU_DEP_2) | instskip(NEXT) | instid1(VALU_DEP_1)
	v_pk_add_f32 v[8:9], v[10:11], v[8:9] neg_lo:[0,1] neg_hi:[0,1]
	v_pk_add_f32 v[6:7], v[12:13], v[8:9]
	v_mov_b64_e32 v[8:9], s[14:15]
	s_delay_alu instid0(VALU_DEP_2) | instskip(NEXT) | instid1(VALU_DEP_1)
	v_pk_add_f32 v[0:1], v[6:7], v[0:1]
	v_pk_add_f32 v[6:7], v[24:25], v[0:1]
	s_delay_alu instid0(VALU_DEP_1) | instskip(NEXT) | instid1(VALU_DEP_4)
	v_pk_add_f32 v[10:11], v[6:7], v[24:25] neg_lo:[0,1] neg_hi:[0,1]
	v_pk_mul_f32 v[12:13], v[8:9], v[6:7]
	s_delay_alu instid0(VALU_DEP_2) | instskip(NEXT) | instid1(VALU_DEP_2)
	v_pk_add_f32 v[0:1], v[0:1], v[10:11] neg_lo:[0,1] neg_hi:[0,1]
	v_pk_fma_f32 v[6:7], v[8:9], v[6:7], v[12:13] neg_lo:[0,0,1] neg_hi:[0,0,1]
	v_readfirstlane_b32 s0, v13
	s_delay_alu instid0(VALU_DEP_2) | instskip(NEXT) | instid1(VALU_DEP_2)
	v_pk_fma_f32 v[0:1], v[8:9], v[0:1], v[6:7]
	v_cmp_class_f32_e64 s1, s0, 0x204
	s_delay_alu instid0(VALU_DEP_2) | instskip(SKIP_1) | instid1(VALU_DEP_1)
	v_pk_add_f32 v[6:7], v[12:13], v[0:1]
	s_and_b32 s1, s1, exec_lo
	v_readfirstlane_b32 s9, v7
	s_delay_alu instid0(VALU_DEP_2) | instskip(SKIP_1) | instid1(VALU_DEP_1)
	v_pk_add_f32 v[8:9], v[6:7], v[12:13] neg_lo:[0,1] neg_hi:[0,1]
	s_cselect_b32 s0, s0, s9
	v_pk_add_f32 v[0:1], v[0:1], v[8:9] neg_lo:[0,1] neg_hi:[0,1]
	s_and_b32 s1, s0, 0x7fffffff
	s_delay_alu instid0(SALU_CYCLE_1) | instskip(SKIP_4) | instid1(SALU_CYCLE_1)
	s_cmp_neq_f32 s1, 0x7f800000
	s_cselect_b32 vcc_lo, -1, 0
	s_cmp_eq_f32 s0, 0x42b17218
	v_cndmask_b32_e32 v1, 0, v1, vcc_lo
	s_cselect_b32 s1, 0x37000000, 0
	s_sub_f32 s9, s0, s1
	s_delay_alu instid0(VALU_DEP_1) | instskip(NEXT) | instid1(SALU_CYCLE_2)
	v_add_f32_e32 v1, s1, v1
	s_mul_f32 s0, s9, 0x3fb8aa3b
	s_delay_alu instid0(SALU_CYCLE_3) | instskip(SKIP_3) | instid1(SALU_CYCLE_1)
	s_xor_b32 s20, s0, 0x80000000
	s_rndne_f32 s21, s0
	s_fmamk_f32 s20, s9, 0x3fb8aa3b, s20
	s_cmp_nlt_f32 s9, 0xc2ce8ed0
	s_sub_f32 s0, s0, s21
	s_delay_alu instid0(SALU_CYCLE_1) | instskip(NEXT) | instid1(SALU_CYCLE_3)
	s_fmamk_f32 s20, s9, 0x32a5705f, s20
	s_add_f32 s0, s0, s20
	s_cvt_i32_f32 s20, s21
	s_trunc_f32 s21, s15
	s_delay_alu instid0(SALU_CYCLE_1) | instskip(SKIP_1) | instid1(TRANS32_DEP_1)
	v_s_exp_f32 s0, s0
	v_nop
	v_ldexp_f32 v3, s0, s20
	s_cselect_b32 s0, -1, 0
	s_cmp_ngt_f32 s9, 0x42b17218
	s_mul_f32 s9, s15, 0.5
	v_readfirstlane_b32 s20, v6
	v_cndmask_b32_e64 v3, 0, v3, s0
	s_cselect_b32 vcc_lo, -1, 0
	s_cmp_eq_f32 s21, s15
	s_trunc_f32 s0, s9
	s_delay_alu instid0(VALU_DEP_1) | instskip(SKIP_1) | instid1(SALU_CYCLE_1)
	v_cndmask_b32_e32 v3, 0x7f800000, v3, vcc_lo
	s_cselect_b32 s1, -1, 0
	s_cmp_neq_f32 s0, s9
	v_readfirstlane_b32 s9, v12
	s_delay_alu instid0(VALU_DEP_2) | instskip(SKIP_2) | instid1(SALU_CYCLE_1)
	v_fma_f32 v1, v3, v1, v3
	v_cmp_class_f32_e64 vcc_lo, v3, 0x204
	s_cselect_b32 s0, -1, 0
	s_and_b32 s1, s1, s0
	v_cndmask_b32_e32 v1, v1, v3, vcc_lo
	s_and_b32 s0, s1, exec_lo
	s_cselect_b32 s0, s19, 1.0
	s_cmp_eq_f32 s21, s15
	s_delay_alu instid0(VALU_DEP_1) | instskip(SKIP_2) | instid1(SALU_CYCLE_1)
	v_bfi_b32 v1, 0x7fffffff, v1, s0
	v_cmp_class_f32_e64 s0, s9, 0x204
	s_cselect_b32 s21, -1, 0
	s_and_b32 s21, s21, exec_lo
	v_readfirstlane_b32 s15, v1
	s_cselect_b32 s21, s15, 0x7fc00000
	s_and_b32 s0, s0, exec_lo
	s_cselect_b32 s0, s9, s20
	s_delay_alu instid0(SALU_CYCLE_1) | instskip(NEXT) | instid1(SALU_CYCLE_1)
	s_and_b32 s9, s0, 0x7fffffff
	s_cmp_neq_f32 s9, 0x7f800000
	s_cselect_b32 vcc_lo, -1, 0
	s_cmp_eq_f32 s0, 0x42b17218
	v_cndmask_b32_e32 v0, 0, v0, vcc_lo
	s_cselect_b32 s9, 0x37000000, 0
	s_delay_alu instid0(SALU_CYCLE_1) | instskip(NEXT) | instid1(VALU_DEP_1)
	s_sub_f32 s20, s0, s9
	v_add_f32_e32 v0, s9, v0
	s_delay_alu instid0(SALU_CYCLE_2) | instskip(NEXT) | instid1(SALU_CYCLE_3)
	s_mul_f32 s0, s20, 0x3fb8aa3b
	s_xor_b32 s22, s0, 0x80000000
	s_rndne_f32 s23, s0
	s_fmamk_f32 s22, s20, 0x3fb8aa3b, s22
	s_cmp_nlt_f32 s20, 0xc2ce8ed0
	s_delay_alu instid0(SALU_CYCLE_1) | instskip(NEXT) | instid1(SALU_CYCLE_1)
	s_sub_f32 s0, s0, s23
	s_fmamk_f32 s22, s20, 0x32a5705f, s22
	s_delay_alu instid0(SALU_CYCLE_3) | instskip(SKIP_2) | instid1(SALU_CYCLE_1)
	s_add_f32 s0, s0, s22
	s_cvt_i32_f32 s22, s23
	s_trunc_f32 s23, s14
	v_s_exp_f32 s0, s0
	v_nop
	s_delay_alu instid0(TRANS32_DEP_1) | instskip(SKIP_3) | instid1(VALU_DEP_1)
	v_ldexp_f32 v1, s0, s22
	s_cselect_b32 s0, -1, 0
	s_cmp_ngt_f32 s20, 0x42b17218
	s_mul_f32 s20, s14, 0.5
	v_cndmask_b32_e64 v1, 0, v1, s0
	s_cselect_b32 vcc_lo, -1, 0
	s_cmp_eq_f32 s23, s14
	s_trunc_f32 s0, s20
	s_delay_alu instid0(VALU_DEP_1) | instskip(SKIP_1) | instid1(SALU_CYCLE_1)
	v_cndmask_b32_e32 v1, 0x7f800000, v1, vcc_lo
	s_cselect_b32 s9, -1, 0
	s_cmp_neq_f32 s0, s20
	s_delay_alu instid0(VALU_DEP_1) | instskip(SKIP_2) | instid1(SALU_CYCLE_1)
	v_fma_f32 v0, v1, v0, v1
	v_cmp_class_f32_e64 vcc_lo, v1, 0x204
	s_cselect_b32 s0, -1, 0
	s_and_b32 s0, s9, s0
	v_cndmask_b32_e32 v0, v0, v1, vcc_lo
	s_and_b32 s9, s0, exec_lo
	s_cselect_b32 s9, s18, 1.0
	s_cmp_eq_f32 s23, s14
	s_delay_alu instid0(VALU_DEP_1) | instskip(SKIP_1) | instid1(SALU_CYCLE_1)
	v_bfi_b32 v0, 0x7fffffff, v0, s9
	s_cselect_b32 s14, -1, 0
	s_and_b32 s14, s14, exec_lo
	s_delay_alu instid0(VALU_DEP_1)
	v_readfirstlane_b32 s9, v0
	s_cselect_b32 s14, s9, 0x7fc00000
	s_cmp_lt_f32 s18, 0
	s_cselect_b32 s9, s14, s9
	s_cmp_eq_f32 s18, 0
	v_cmp_class_f32_e64 s14, s18, 0x204
	s_cselect_b32 s20, -1, 0
	s_delay_alu instid0(SALU_CYCLE_1)
	s_and_b32 s22, s20, exec_lo
	s_cselect_b32 s22, 0, 0x7f800000
	s_or_b32 s14, s20, s14
	s_and_b32 s0, s0, exec_lo
	s_cselect_b32 s0, s18, 0
	s_and_b32 s14, s14, exec_lo
	v_mov_b32_e32 v0, s0
	v_cmp_class_f32_e64 s14, s19, 0x204
	s_delay_alu instid0(VALU_DEP_2) | instskip(NEXT) | instid1(VALU_DEP_1)
	v_bfi_b32 v0, 0x7fffffff, s22, v0
	v_readfirstlane_b32 s0, v0
	s_cselect_b32 s0, s0, s9
	s_cmp_o_f32 s18, s18
	s_cselect_b32 s0, s0, 0x7fc00000
	s_cmp_lt_f32 s19, 0
	s_cselect_b32 s9, s21, s15
	s_cmp_eq_f32 s19, 0
	s_cselect_b32 s15, -1, 0
	s_delay_alu instid0(SALU_CYCLE_1)
	s_and_b32 s18, s15, exec_lo
	s_cselect_b32 s18, 0, 0x7f800000
	s_or_b32 s14, s15, s14
	s_and_b32 s1, s1, exec_lo
	s_cselect_b32 s1, s19, 0
	s_and_b32 s14, s14, exec_lo
	v_mov_b32_e32 v0, s1
	s_delay_alu instid0(VALU_DEP_1) | instskip(NEXT) | instid1(VALU_DEP_1)
	v_bfi_b32 v0, 0x7fffffff, s18, v0
	v_readfirstlane_b32 s1, v0
	s_cselect_b32 s1, s1, s9
	s_cmp_o_f32 s19, s19
	s_cselect_b32 s1, s1, 0x7fc00000
	s_delay_alu instid0(SALU_CYCLE_1) | instskip(NEXT) | instid1(SALU_CYCLE_3)
	s_add_f32 s0, s0, s1
	s_mul_f32 s1, s0, 0x4f800000
	s_cmp_lt_f32 s0, 0xf800000
	s_delay_alu instid0(SALU_CYCLE_2) | instskip(NEXT) | instid1(SALU_CYCLE_1)
	s_cselect_b32 s1, s1, s0
	v_s_sqrt_f32 s9, s1
	s_mov_b32 s15, s1
	s_delay_alu instid0(TRANS32_DEP_1) | instskip(NEXT) | instid1(SALU_CYCLE_1)
	s_add_co_i32 s14, s9, -1
	s_xor_b32 s18, s14, 0x80000000
	s_delay_alu instid0(SALU_CYCLE_1) | instskip(SKIP_1) | instid1(SALU_CYCLE_2)
	s_fmac_f32 s15, s18, s9
	s_mov_b32 s18, s1
	s_cmp_le_f32 s15, 0
	s_cselect_b32 s14, s14, s9
	s_add_co_i32 s15, s9, 1
	s_delay_alu instid0(SALU_CYCLE_1) | instskip(NEXT) | instid1(SALU_CYCLE_1)
	s_xor_b32 s20, s15, 0x80000000
	s_fmac_f32 s18, s20, s9
	v_cmp_class_f32_e64 s9, s1, 0x260
	s_delay_alu instid0(SALU_CYCLE_2) | instskip(SKIP_3) | instid1(SALU_CYCLE_3)
	s_cmp_gt_f32 s18, 0
	s_cselect_b32 s14, s15, s14
	s_cmp_lt_f32 s0, 0xf800000
	s_mul_f32 s0, s14, 0x37800000
	s_cselect_b32 s0, s0, s14
	s_and_b32 s9, s9, exec_lo
	s_cselect_b32 s0, s1, s0
	s_cmp_gt_f32 s19, 0
	s_wait_loadcnt 0x0
	v_mul_f32_e32 v0, s0, v4
	v_cmp_class_f32_e64 s0, s16, 0x260
	s_cselect_b32 vcc_lo, -1, 0
	v_xor_b32_e32 v1, 0x80000000, v0
	s_and_b32 s0, s0, exec_lo
	s_cselect_b32 s0, s16, s17
	s_delay_alu instid0(VALU_DEP_1)
	v_dual_cndmask_b32 v0, v0, v1 :: v_dual_mov_b32 v1, s3
	v_cmp_nlt_f32_e32 vcc_lo, 0, v23
	global_store_b32 v2, v0, s[4:5] offset:4
	global_load_b32 v0, v1, s[6:7] scale_offset
	s_wait_loadcnt 0x0
	v_mul_f32_e32 v0, s0, v0
	global_store_b32 v22, v0, s[4:5] offset:4 scale_offset
	s_cbranch_vccnz .LBB1_17
; %bb.16:
	s_ashr_i32 s9, s8, 31
	s_wait_xcnt 0x0
	v_xor_b32_e32 v0, 0x80000000, v0
	s_lshl_b64 s[0:1], s[8:9], 2
	s_delay_alu instid0(SALU_CYCLE_1)
	s_add_nc_u64 s[0:1], s[4:5], s[0:1]
	global_store_b32 v2, v0, s[0:1] offset:4
.LBB1_17:
	s_cmp_lt_i32 s13, s12
	s_cbranch_scc1 .LBB1_22
; %bb.18:
	s_wait_xcnt 0x1
	s_mul_i32 s6, s12, 12
	s_delay_alu instid0(SALU_CYCLE_1) | instskip(SKIP_4) | instid1(VALU_DEP_1)
	v_mov_b32_e32 v10, s6
	global_load_b32 v11, v10, s[4:5] offset:12 scale_offset
	s_wait_loadcnt 0x0
	s_wait_xcnt 0x1
	v_cvt_f64_f32_e64 v[0:1], |v11|
	v_frexp_exp_i32_f64_e32 v0, v[0:1]
	v_frexp_mant_f32_e64 v1, |v11|
	s_delay_alu instid0(VALU_DEP_1) | instskip(SKIP_2) | instid1(SALU_CYCLE_1)
	v_readfirstlane_b32 s0, v1
	s_cmp_lt_f32 s0, 0x3f2aaaab
	s_cselect_b32 vcc_lo, -1, 0
	s_and_b32 s1, vcc_lo, exec_lo
	s_cselect_b32 s1, 2.0, 1.0
	s_sub_co_i32 s7, s24, 20
	s_mul_f32 s0, s0, s1
	v_mov_b32_e32 v12, s7
	s_delay_alu instid0(SALU_CYCLE_2)
	s_add_f32 s1, s0, 1.0
	s_add_f32 s8, s0, -1.0
	global_load_b32 v13, v12, s[4:5] scale_offset
	v_s_rcp_f32 s7, s1
	s_add_f32 s13, s1, -1.0
	v_subrev_co_ci_u32_e64 v0, null, 0, v0, vcc_lo
	s_delay_alu instid0(SALU_CYCLE_2) | instskip(NEXT) | instid1(TRANS32_DEP_1)
	s_sub_f32 s0, s0, s13
	s_mul_f32 s9, s8, s7
	v_cvt_f32_i32_e32 v26, v0
	s_delay_alu instid0(SALU_CYCLE_2) | instskip(NEXT) | instid1(SALU_CYCLE_3)
	s_mul_f32 s12, s1, s9
	v_dual_mov_b32 v3, s8 :: v_dual_mov_b32 v4, s12
	s_xor_b32 s14, s12, 0x80000000
	s_delay_alu instid0(SALU_CYCLE_1) | instskip(NEXT) | instid1(SALU_CYCLE_3)
	s_fmac_f32 s14, s9, s1
	s_fmac_f32 s14, s9, s0
	s_delay_alu instid0(SALU_CYCLE_3) | instskip(SKIP_2) | instid1(SALU_CYCLE_1)
	s_add_f32 s0, s12, s14
	v_mov_b32_e32 v6, s14
	s_mov_b32 s12, 0x3e76c4e1
	s_sub_f32 s1, s8, s0
	v_dual_mov_b32 v2, s0 :: v_dual_mov_b32 v7, s0
	s_delay_alu instid0(SALU_CYCLE_2) | instskip(NEXT) | instid1(VALU_DEP_1)
	v_mov_b32_e32 v5, s1
	v_pk_add_f32 v[2:3], v[2:3], v[4:5] neg_lo:[0,1] neg_hi:[0,1]
	s_delay_alu instid0(VALU_DEP_1) | instskip(NEXT) | instid1(VALU_DEP_1)
	v_pk_add_f32 v[2:3], v[2:3], v[6:7] neg_lo:[0,1] neg_hi:[0,1]
	v_readfirstlane_b32 s0, v3
	s_delay_alu instid0(VALU_DEP_2) | instskip(SKIP_1) | instid1(SALU_CYCLE_3)
	v_readfirstlane_b32 s8, v2
	s_add_f32 s0, s8, s0
	s_add_f32 s0, s1, s0
	s_delay_alu instid0(SALU_CYCLE_3) | instskip(NEXT) | instid1(SALU_CYCLE_3)
	s_mul_f32 s1, s7, s0
	s_add_f32 s0, s9, s1
	s_delay_alu instid0(SALU_CYCLE_3) | instskip(SKIP_1) | instid1(SALU_CYCLE_2)
	s_sub_f32 s7, s0, s9
	s_mul_f32 s9, s0, s0
	s_sub_f32 s7, s1, s7
	s_delay_alu instid0(SALU_CYCLE_2) | instskip(NEXT) | instid1(SALU_CYCLE_1)
	s_xor_b32 s1, s9, 0x80000000
	s_fmac_f32 s1, s0, s0
	s_delay_alu instid0(SALU_CYCLE_1) | instskip(NEXT) | instid1(SALU_CYCLE_3)
	s_add_f32 s8, s7, s7
	s_fmac_f32 s1, s0, s8
	s_delay_alu instid0(SALU_CYCLE_3) | instskip(NEXT) | instid1(SALU_CYCLE_3)
	s_add_f32 s8, s9, s1
	s_fmaak_f32 s13, s8, s12, 0x3e91f4c4
	s_sub_f32 s9, s8, s9
	s_delay_alu instid0(SALU_CYCLE_2) | instskip(NEXT) | instid1(SALU_CYCLE_3)
	s_fmaak_f32 s13, s8, s13, 0x3ecccdef
	s_mul_f32 s15, s8, s13
	s_delay_alu instid0(SALU_CYCLE_3) | instskip(NEXT) | instid1(SALU_CYCLE_1)
	s_xor_b32 s17, s15, 0x80000000
	s_fmac_f32 s17, s8, s13
	s_wait_loadcnt 0x0
	v_frexp_mant_f32_e64 v2, |v13|
	v_cvt_f64_f32_e64 v[4:5], |v13|
	s_delay_alu instid0(VALU_DEP_2) | instskip(SKIP_2) | instid1(SALU_CYCLE_1)
	v_readfirstlane_b32 s14, v2
	s_cmp_lt_f32 s14, 0x3f2aaaab
	s_cselect_b32 vcc_lo, -1, 0
	s_and_b32 s16, vcc_lo, exec_lo
	s_cselect_b32 s16, 2.0, 1.0
	s_delay_alu instid0(SALU_CYCLE_1) | instskip(NEXT) | instid1(SALU_CYCLE_3)
	s_mul_f32 s14, s14, s16
	s_add_f32 s16, s14, 1.0
	s_add_f32 s19, s14, -1.0
	s_delay_alu instid0(SALU_CYCLE_2) | instskip(SKIP_1) | instid1(SALU_CYCLE_3)
	v_s_rcp_f32 s18, s16
	s_add_f32 s22, s16, -1.0
	s_sub_f32 s14, s14, s22
	v_frexp_exp_i32_f64_e32 v1, v[4:5]
	s_delay_alu instid0(TRANS32_DEP_1) | instskip(NEXT) | instid1(SALU_CYCLE_3)
	s_mul_f32 s20, s19, s18
	s_mul_f32 s21, s16, s20
	s_delay_alu instid0(SALU_CYCLE_3) | instskip(SKIP_1) | instid1(SALU_CYCLE_1)
	v_dual_mov_b32 v3, s19 :: v_dual_mov_b32 v4, s21
	s_xor_b32 s23, s21, 0x80000000
	s_fmac_f32 s23, s20, s16
	s_delay_alu instid0(SALU_CYCLE_3) | instskip(NEXT) | instid1(SALU_CYCLE_3)
	s_fmac_f32 s23, s20, s14
	s_add_f32 s14, s21, s23
	v_mov_b32_e32 v6, s23
	s_sub_f32 s21, s1, s9
	s_delay_alu instid0(SALU_CYCLE_1) | instskip(SKIP_1) | instid1(SALU_CYCLE_1)
	s_sub_f32 s16, s19, s14
	v_dual_mov_b32 v2, s14 :: v_dual_mov_b32 v7, s14
	s_fmac_f32 s17, s21, s13
	s_delay_alu instid0(SALU_CYCLE_1) | instskip(NEXT) | instid1(SALU_CYCLE_2)
	v_mov_b32_e32 v5, s16
	s_add_f32 s9, s15, s17
	v_subrev_co_ci_u32_e64 v25, null, 0, v1, vcc_lo
	s_delay_alu instid0(VALU_DEP_2) | instskip(NEXT) | instid1(SALU_CYCLE_1)
	v_pk_add_f32 v[2:3], v[2:3], v[4:5] neg_lo:[0,1] neg_hi:[0,1]
	s_sub_f32 s15, s9, s15
	s_delay_alu instid0(VALU_DEP_1) | instskip(NEXT) | instid1(SALU_CYCLE_2)
	v_pk_add_f32 v[2:3], v[2:3], v[6:7] neg_lo:[0,1] neg_hi:[0,1]
	s_sub_f32 s15, s17, s15
	s_delay_alu instid0(VALU_DEP_1) | instskip(NEXT) | instid1(VALU_DEP_2)
	v_readfirstlane_b32 s14, v3
	v_readfirstlane_b32 s19, v2
	s_add_f32 s14, s19, s14
	s_delay_alu instid0(SALU_CYCLE_3) | instskip(NEXT) | instid1(SALU_CYCLE_3)
	s_add_f32 s14, s16, s14
	s_mul_f32 s16, s18, s14
	s_delay_alu instid0(SALU_CYCLE_3) | instskip(NEXT) | instid1(SALU_CYCLE_3)
	s_add_f32 s14, s20, s16
	s_sub_f32 s18, s14, s20
	s_mul_f32 s19, s14, s14
	s_delay_alu instid0(SALU_CYCLE_2) | instskip(NEXT) | instid1(SALU_CYCLE_2)
	s_sub_f32 s18, s16, s18
	s_xor_b32 s20, s19, 0x80000000
	s_delay_alu instid0(SALU_CYCLE_1) | instskip(NEXT) | instid1(SALU_CYCLE_1)
	s_fmac_f32 s20, s14, s14
	s_add_f32 s16, s18, s18
	s_delay_alu instid0(SALU_CYCLE_3) | instskip(NEXT) | instid1(SALU_CYCLE_3)
	s_fmac_f32 s20, s14, s16
	s_add_f32 s16, s19, s20
	s_delay_alu instid0(SALU_CYCLE_3) | instskip(SKIP_1) | instid1(SALU_CYCLE_2)
	s_fmaak_f32 s1, s16, s12, 0x3e91f4c4
	s_sub_f32 s19, s16, s19
	s_fmaak_f32 s1, s16, s1, 0x3ecccdef
	s_delay_alu instid0(SALU_CYCLE_2) | instskip(SKIP_1) | instid1(SALU_CYCLE_1)
	s_sub_f32 s19, s20, s19
	s_add_f32 s20, s9, 0x3f2aaaaa
	s_mul_f32 s13, s16, s1
	s_delay_alu instid0(SALU_CYCLE_2) | instskip(NEXT) | instid1(SALU_CYCLE_2)
	s_add_f32 s17, s20, 0xbf2aaaaa
	s_xor_b32 s22, s13, 0x80000000
	s_delay_alu instid0(SALU_CYCLE_1) | instskip(NEXT) | instid1(SALU_CYCLE_1)
	s_fmac_f32 s22, s16, s1
	s_sub_f32 s9, s9, s17
	s_delay_alu instid0(SALU_CYCLE_2) | instskip(SKIP_1) | instid1(SALU_CYCLE_1)
	s_fmac_f32 s22, s19, s1
	s_add_f32 s1, s15, 0x31739010
	v_mov_b64_e32 v[4:5], s[8:9]
	s_delay_alu instid0(SALU_CYCLE_1) | instskip(NEXT) | instid1(SALU_CYCLE_1)
	s_add_f32 s23, s13, s22
	v_mov_b64_e32 v[2:3], s[0:1]
	s_delay_alu instid0(SALU_CYCLE_2) | instskip(SKIP_1) | instid1(SALU_CYCLE_2)
	s_sub_f32 s1, s23, s13
	s_add_f32 s13, s23, 0x3f2aaaaa
	s_sub_f32 s1, s22, s1
	s_delay_alu instid0(SALU_CYCLE_2) | instskip(NEXT) | instid1(VALU_DEP_1)
	s_add_f32 s9, s13, 0xbf2aaaaa
	v_pk_mul_f32 v[6:7], v[2:3], v[4:5]
	v_pk_add_f32 v[2:3], v[2:3], v[4:5]
	s_add_f32 s15, s1, 0x31739010
	s_sub_f32 s17, s23, s9
	v_mov_b32_e32 v17, s20
	v_xor_b32_e32 v16, 0x80000000, v6
	v_mov_b64_e32 v[8:9], s[14:15]
	v_mov_b64_e32 v[14:15], s[16:17]
	v_dual_mov_b32 v7, v3 :: v_dual_mov_b32 v5, s13
	s_delay_alu instid0(VALU_DEP_4) | instskip(NEXT) | instid1(VALU_DEP_3)
	v_fmac_f32_e64 v16, s8, s0
	v_pk_mul_f32 v[18:19], v[8:9], v[14:15]
	s_delay_alu instid0(VALU_DEP_2) | instskip(SKIP_2) | instid1(VALU_DEP_4)
	v_fmac_f32_e64 v16, s8, s7
	v_pk_add_f32 v[0:1], v[8:9], v[14:15]
	v_mul_f32_e32 v0, 0x3f317218, v26
	v_xor_b32_e32 v4, 0x80000000, v18
	s_delay_alu instid0(VALU_DEP_4) | instskip(NEXT) | instid1(VALU_DEP_3)
	v_fmac_f32_e64 v16, s21, s0
	v_xor_b32_e32 v14, 0x80000000, v0
	s_delay_alu instid0(VALU_DEP_3) | instskip(NEXT) | instid1(VALU_DEP_3)
	v_fmac_f32_e64 v4, s16, s14
	v_pk_add_f32 v[8:9], v[6:7], v[16:17]
	s_delay_alu instid0(VALU_DEP_3) | instskip(SKIP_1) | instid1(VALU_DEP_4)
	v_dual_mov_b32 v19, v1 :: v_dual_fmac_f32 v14, 0x3f317218, v26
	v_ldexp_f32 v17, s14, 1
	v_fmac_f32_e64 v4, s16, s18
	s_delay_alu instid0(VALU_DEP_4) | instskip(NEXT) | instid1(VALU_DEP_2)
	v_dual_mov_b32 v2, v9 :: v_dual_sub_f32 v6, v8, v6
	v_fmac_f32_e64 v4, s19, s14
	s_delay_alu instid0(VALU_DEP_2) | instskip(NEXT) | instid1(VALU_DEP_2)
	v_pk_mul_f32 v[22:23], v[8:9], v[2:3]
	v_pk_add_f32 v[20:21], v[18:19], v[4:5]
	v_sub_f32_e32 v5, s20, v9
	s_delay_alu instid0(VALU_DEP_3) | instskip(SKIP_1) | instid1(VALU_DEP_4)
	v_xor_b32_e32 v24, 0x80000000, v22
	v_fmac_f32_e32 v14, 0xb102e308, v26
	v_dual_sub_f32 v7, v16, v6 :: v_dual_sub_f32 v15, s13, v21
	s_delay_alu instid0(VALU_DEP_4) | instskip(NEXT) | instid1(VALU_DEP_4)
	v_dual_mov_b32 v2, v21 :: v_dual_add_f32 v5, v3, v5
	v_fmac_f32_e32 v24, v8, v9
	v_readfirstlane_b32 s13, v13
	s_delay_alu instid0(VALU_DEP_4) | instskip(NEXT) | instid1(VALU_DEP_4)
	v_add_f32_e32 v1, v1, v15
	v_pk_mul_f32 v[2:3], v[20:21], v[2:3]
	v_cvt_f32_i32_e32 v3, v25
	v_ldexp_f32 v15, s0, 1
	v_fmac_f32_e32 v24, v8, v5
	v_sub_f32_e32 v5, v20, v18
	v_xor_b32_e32 v6, 0x80000000, v2
	s_delay_alu instid0(VALU_DEP_4) | instskip(NEXT) | instid1(VALU_DEP_4)
	v_dual_mul_f32 v8, 0x3f317218, v3 :: v_dual_mov_b32 v23, v15
	v_fmac_f32_e32 v24, v7, v9
	s_delay_alu instid0(VALU_DEP_4) | instskip(NEXT) | instid1(VALU_DEP_4)
	v_sub_f32_e32 v4, v4, v5
	v_fmac_f32_e32 v6, v20, v21
	s_delay_alu instid0(VALU_DEP_4) | instskip(NEXT) | instid1(VALU_DEP_2)
	v_xor_b32_e32 v16, 0x80000000, v8
	v_dual_fmac_f32 v6, v20, v1 :: v_dual_add_f32 v1, v22, v24
	s_delay_alu instid0(VALU_DEP_2) | instskip(NEXT) | instid1(VALU_DEP_2)
	v_fmac_f32_e32 v16, 0x3f317218, v3
	v_fmac_f32_e32 v6, v4, v21
	s_delay_alu instid0(VALU_DEP_3) | instskip(NEXT) | instid1(VALU_DEP_3)
	v_pk_add_f32 v[4:5], v[0:1], v[14:15]
	v_dual_mov_b32 v25, v1 :: v_dual_fmac_f32 v16, 0xb102e308, v3
	s_delay_alu instid0(VALU_DEP_3) | instskip(NEXT) | instid1(VALU_DEP_3)
	v_dual_mov_b32 v3, v17 :: v_dual_add_f32 v9, v2, v6
	v_dual_mov_b32 v18, v1 :: v_dual_mov_b32 v19, v5
	v_ldexp_f32 v1, s7, 1
	v_readfirstlane_b32 s7, v11
	s_delay_alu instid0(VALU_DEP_4)
	v_pk_add_f32 v[20:21], v[8:9], v[16:17]
	v_mov_b32_e32 v7, v9
	v_pk_add_f32 v[18:19], v[18:19], v[22:23] neg_lo:[0,1] neg_hi:[0,1]
	v_mov_b32_e32 v22, v9
	v_ldexp_f32 v9, s18, 1
	v_dual_mov_b32 v23, v21 :: v_dual_mov_b32 v15, v4
	s_delay_alu instid0(VALU_DEP_4) | instskip(SKIP_2) | instid1(VALU_DEP_3)
	v_pk_add_f32 v[18:19], v[24:25], v[18:19] neg_lo:[0,1] neg_hi:[0,1]
	s_cmp_eq_f32 s7, 1.0
	v_mov_b32_e32 v17, v20
	v_pk_add_f32 v[2:3], v[22:23], v[2:3] neg_lo:[0,1] neg_hi:[0,1]
	v_mov_b32_e32 v30, v5
	v_add_f32_e32 v1, v1, v18
	s_cselect_b32 s9, 1.0, 2.0
	s_cmp_eq_f32 s13, 1.0
	v_pk_add_f32 v[2:3], v[6:7], v[2:3] neg_lo:[0,1] neg_hi:[0,1]
	s_delay_alu instid0(VALU_DEP_2) | instskip(SKIP_1) | instid1(VALU_DEP_2)
	v_add_f32_e32 v1, v1, v19
	s_cselect_b32 s8, 1.0, 2.0
	v_add_f32_e32 v2, v9, v2
	s_delay_alu instid0(VALU_DEP_2) | instskip(SKIP_1) | instid1(VALU_DEP_2)
	v_pk_add_f32 v[6:7], v[4:5], v[0:1]
	v_pk_add_f32 v[18:19], v[4:5], v[0:1] neg_lo:[0,1] neg_hi:[0,1]
	v_dual_add_f32 v9, v2, v3 :: v_dual_mov_b32 v19, v7
	s_delay_alu instid0(VALU_DEP_1) | instskip(SKIP_1) | instid1(VALU_DEP_3)
	v_pk_add_f32 v[2:3], v[20:21], v[8:9]
	v_pk_add_f32 v[24:25], v[20:21], v[8:9] neg_lo:[0,1] neg_hi:[0,1]
	v_pk_add_f32 v[22:23], v[14:15], v[18:19]
	v_mov_b32_e32 v22, v7
	v_pk_add_f32 v[14:15], v[14:15], v[18:19] neg_lo:[0,1] neg_hi:[0,1]
	s_delay_alu instid0(VALU_DEP_3) | instskip(SKIP_1) | instid1(VALU_DEP_2)
	v_dual_mov_b32 v25, v3 :: v_dual_mov_b32 v0, v23
	v_mov_b32_e32 v15, v23
	v_pk_add_f32 v[26:27], v[16:17], v[24:25]
	v_mov_b32_e32 v26, v3
	s_delay_alu instid0(VALU_DEP_4) | instskip(SKIP_1) | instid1(VALU_DEP_2)
	v_pk_add_f32 v[28:29], v[0:1], v[4:5] neg_lo:[0,1] neg_hi:[0,1]
	v_dual_mov_b32 v5, v4 :: v_dual_mov_b32 v4, v1
	v_dual_mov_b32 v0, v27 :: v_dual_mov_b32 v29, v28
	v_mov_b32_e32 v31, v28
	s_delay_alu instid0(VALU_DEP_2) | instskip(NEXT) | instid1(VALU_DEP_3)
	v_pk_add_f32 v[0:1], v[0:1], v[20:21] neg_lo:[0,1] neg_hi:[0,1]
	v_pk_add_f32 v[6:7], v[6:7], v[28:29] neg_lo:[0,1] neg_hi:[0,1]
	v_dual_mov_b32 v28, v21 :: v_dual_mov_b32 v21, v20
	s_delay_alu instid0(VALU_DEP_3) | instskip(SKIP_3) | instid1(VALU_DEP_4)
	v_dual_mov_b32 v29, v0 :: v_dual_mov_b32 v20, v9
	v_mov_b32_e32 v1, v0
	v_pk_add_f32 v[18:19], v[22:23], v[30:31] neg_lo:[0,1] neg_hi:[0,1]
	v_pk_add_f32 v[8:9], v[16:17], v[24:25] neg_lo:[0,1] neg_hi:[0,1]
	;; [unrolled: 1-line block ×3, first 2 shown]
	v_mov_b32_e32 v6, v14
	v_pk_add_f32 v[0:1], v[2:3], v[0:1] neg_lo:[0,1] neg_hi:[0,1]
	v_pk_add_f32 v[18:19], v[4:5], v[18:19] neg_lo:[0,1] neg_hi:[0,1]
	v_mov_b32_e32 v0, v8
	v_pk_add_f32 v[2:3], v[20:21], v[16:17] neg_lo:[0,1] neg_hi:[0,1]
	v_mov_b32_e32 v22, v27
	s_delay_alu instid0(VALU_DEP_4) | instskip(NEXT) | instid1(VALU_DEP_3)
	v_pk_add_f32 v[4:5], v[6:7], v[18:19]
	v_pk_add_f32 v[6:7], v[0:1], v[2:3]
	s_delay_alu instid0(VALU_DEP_2) | instskip(NEXT) | instid1(VALU_DEP_2)
	v_dual_mov_b32 v17, v4 :: v_dual_mov_b32 v1, v5
	v_dual_mov_b32 v16, v6 :: v_dual_mov_b32 v0, v7
	s_delay_alu instid0(VALU_DEP_1) | instskip(NEXT) | instid1(VALU_DEP_1)
	v_pk_add_f32 v[20:21], v[16:17], v[0:1]
	v_pk_add_f32 v[0:1], v[22:23], v[20:21]
	v_dual_mov_b32 v9, v27 :: v_dual_mov_b32 v19, v21
	s_delay_alu instid0(VALU_DEP_2) | instskip(NEXT) | instid1(VALU_DEP_1)
	v_dual_mov_b32 v5, v1 :: v_dual_mov_b32 v7, v0
	v_pk_add_f32 v[22:23], v[4:5], v[14:15] neg_lo:[0,1] neg_hi:[0,1]
	s_delay_alu instid0(VALU_DEP_2) | instskip(SKIP_1) | instid1(VALU_DEP_2)
	v_pk_add_f32 v[6:7], v[6:7], v[8:9] neg_lo:[0,1] neg_hi:[0,1]
	v_dual_mov_b32 v3, v20 :: v_dual_mov_b32 v9, v14
	v_dual_mov_b32 v21, v22 :: v_dual_mov_b32 v20, v6
	s_delay_alu instid0(VALU_DEP_2) | instskip(SKIP_1) | instid1(VALU_DEP_3)
	v_pk_add_f32 v[4:5], v[2:3], v[6:7] neg_lo:[0,1] neg_hi:[0,1]
	v_pk_add_f32 v[2:3], v[18:19], v[22:23] neg_lo:[0,1] neg_hi:[0,1]
	;; [unrolled: 1-line block ×3, first 2 shown]
	s_delay_alu instid0(VALU_DEP_2) | instskip(NEXT) | instid1(VALU_DEP_4)
	v_dual_mov_b32 v6, v4 :: v_dual_mov_b32 v7, v2
	v_dual_mov_b32 v4, 0 :: v_dual_mov_b32 v2, v5
	s_delay_alu instid0(VALU_DEP_3) | instskip(SKIP_3) | instid1(VALU_DEP_2)
	v_pk_add_f32 v[8:9], v[8:9], v[14:15] neg_lo:[0,1] neg_hi:[0,1]
	global_load_b32 v5, v4, s[10:11] offset:4
	v_pk_add_f32 v[6:7], v[6:7], v[8:9]
	v_mov_b64_e32 v[8:9], s[8:9]
	v_pk_add_f32 v[2:3], v[6:7], v[2:3]
	s_delay_alu instid0(VALU_DEP_1) | instskip(NEXT) | instid1(VALU_DEP_1)
	v_pk_add_f32 v[6:7], v[0:1], v[2:3]
	v_pk_add_f32 v[0:1], v[6:7], v[0:1] neg_lo:[0,1] neg_hi:[0,1]
	s_delay_alu instid0(VALU_DEP_4) | instskip(NEXT) | instid1(VALU_DEP_2)
	v_pk_mul_f32 v[14:15], v[8:9], v[6:7]
	v_pk_add_f32 v[0:1], v[2:3], v[0:1] neg_lo:[0,1] neg_hi:[0,1]
	s_delay_alu instid0(VALU_DEP_2) | instskip(SKIP_1) | instid1(VALU_DEP_2)
	v_pk_fma_f32 v[2:3], v[8:9], v[6:7], v[14:15] neg_lo:[0,0,1] neg_hi:[0,0,1]
	v_readfirstlane_b32 s0, v14
	v_pk_fma_f32 v[0:1], v[8:9], v[0:1], v[2:3]
	s_delay_alu instid0(VALU_DEP_2) | instskip(NEXT) | instid1(VALU_DEP_2)
	v_cmp_class_f32_e64 s1, s0, 0x204
	v_pk_add_f32 v[2:3], v[14:15], v[0:1]
	s_and_b32 s1, s1, exec_lo
	s_delay_alu instid0(VALU_DEP_1) | instskip(NEXT) | instid1(VALU_DEP_2)
	v_readfirstlane_b32 s14, v2
	v_pk_add_f32 v[6:7], v[2:3], v[14:15] neg_lo:[0,1] neg_hi:[0,1]
	s_cselect_b32 s0, s0, s14
	s_delay_alu instid0(VALU_DEP_1) | instskip(SKIP_1) | instid1(SALU_CYCLE_1)
	v_pk_add_f32 v[0:1], v[0:1], v[6:7] neg_lo:[0,1] neg_hi:[0,1]
	s_and_b32 s1, s0, 0x7fffffff
	s_cmp_neq_f32 s1, 0x7f800000
	s_cselect_b32 vcc_lo, -1, 0
	s_cmp_eq_f32 s0, 0x42b17218
	s_cselect_b32 s1, 0x37000000, 0
	s_delay_alu instid0(SALU_CYCLE_1) | instskip(NEXT) | instid1(SALU_CYCLE_3)
	s_sub_f32 s14, s0, s1
	s_mul_f32 s0, s14, 0x3fb8aa3b
	s_delay_alu instid0(SALU_CYCLE_3) | instskip(SKIP_3) | instid1(SALU_CYCLE_1)
	s_xor_b32 s15, s0, 0x80000000
	s_rndne_f32 s16, s0
	s_fmamk_f32 s15, s14, 0x3fb8aa3b, s15
	s_cmp_nlt_f32 s14, 0xc2ce8ed0
	s_sub_f32 s0, s0, s16
	s_delay_alu instid0(SALU_CYCLE_1) | instskip(NEXT) | instid1(SALU_CYCLE_3)
	s_fmamk_f32 s15, s14, 0x32a5705f, s15
	s_add_f32 s0, s0, s15
	s_cvt_i32_f32 s15, s16
	s_trunc_f32 s16, s8
	s_delay_alu instid0(SALU_CYCLE_1) | instskip(SKIP_1) | instid1(TRANS32_DEP_1)
	v_s_exp_f32 s0, s0
	v_nop
	v_ldexp_f32 v2, s0, s15
	s_cselect_b32 s0, -1, 0
	s_cmp_ngt_f32 s14, 0x42b17218
	s_mul_f32 s14, s8, 0.5
	s_delay_alu instid0(VALU_DEP_1) | instskip(SKIP_3) | instid1(VALU_DEP_1)
	v_dual_cndmask_b32 v0, 0, v0, vcc_lo :: v_dual_cndmask_b32 v2, 0, v2, s0
	s_cselect_b32 vcc_lo, -1, 0
	s_cmp_eq_f32 s16, s8
	s_trunc_f32 s0, s14
	v_add_f32_e32 v0, s1, v0
	v_cndmask_b32_e32 v2, 0x7f800000, v2, vcc_lo
	s_cselect_b32 s1, -1, 0
	s_cmp_neq_f32 s0, s14
	v_readfirstlane_b32 s14, v3
	s_cselect_b32 s0, -1, 0
	s_delay_alu instid0(SALU_CYCLE_1) | instskip(SKIP_3) | instid1(VALU_DEP_1)
	s_and_b32 vcc_lo, s1, s0
	v_cmp_class_f32_e64 s0, v2, 0x204
	v_dual_cndmask_b32 v6, 1.0, v13, vcc_lo :: v_dual_fma_f32 v0, v2, v0, v2
	s_cmp_eq_f32 s16, s8
	v_cndmask_b32_e64 v0, v0, v2, s0
	v_readfirstlane_b32 s0, v15
	s_cselect_b32 s15, -1, 0
	s_delay_alu instid0(SALU_CYCLE_1) | instskip(SKIP_2) | instid1(VALU_DEP_2)
	s_and_b32 s15, s15, exec_lo
	v_bfi_b32 v0, 0x7fffffff, v0, v6
	v_cmp_class_f32_e64 s1, s0, 0x204
	v_readfirstlane_b32 s8, v0
	s_cselect_b32 s15, s8, 0x7fc00000
	s_and_b32 s1, s1, exec_lo
	s_cselect_b32 s1, s0, s14
	s_delay_alu instid0(SALU_CYCLE_1) | instskip(NEXT) | instid1(SALU_CYCLE_1)
	s_and_b32 s0, s1, 0x7fffffff
	s_cmp_neq_f32 s0, 0x7f800000
	s_cselect_b32 s0, -1, 0
	s_cmp_eq_f32 s1, 0x42b17218
	v_cndmask_b32_e64 v1, 0, v1, s0
	s_cselect_b32 s14, 0x37000000, 0
	s_delay_alu instid0(SALU_CYCLE_1) | instskip(NEXT) | instid1(VALU_DEP_1)
	s_sub_f32 s16, s1, s14
	v_add_f32_e32 v1, s14, v1
	s_delay_alu instid0(SALU_CYCLE_2) | instskip(NEXT) | instid1(SALU_CYCLE_3)
	s_mul_f32 s1, s16, 0x3fb8aa3b
	s_xor_b32 s17, s1, 0x80000000
	s_rndne_f32 s18, s1
	s_fmamk_f32 s17, s16, 0x3fb8aa3b, s17
	s_cmp_nlt_f32 s16, 0xc2ce8ed0
	s_delay_alu instid0(SALU_CYCLE_1) | instskip(NEXT) | instid1(SALU_CYCLE_1)
	s_sub_f32 s1, s1, s18
	s_fmamk_f32 s17, s16, 0x32a5705f, s17
	s_delay_alu instid0(SALU_CYCLE_3) | instskip(SKIP_2) | instid1(SALU_CYCLE_1)
	s_add_f32 s1, s1, s17
	s_cvt_i32_f32 s17, s18
	s_trunc_f32 s18, s9
	v_s_exp_f32 s1, s1
	v_nop
	s_delay_alu instid0(TRANS32_DEP_1) | instskip(SKIP_3) | instid1(VALU_DEP_1)
	v_ldexp_f32 v0, s1, s17
	s_cselect_b32 s1, -1, 0
	s_cmp_ngt_f32 s16, 0x42b17218
	s_mul_f32 s16, s9, 0.5
	v_cndmask_b32_e64 v0, 0, v0, s1
	s_cselect_b32 s0, -1, 0
	s_cmp_eq_f32 s18, s9
	s_trunc_f32 s1, s16
	s_delay_alu instid0(VALU_DEP_1) | instskip(SKIP_1) | instid1(SALU_CYCLE_1)
	v_cndmask_b32_e64 v0, 0x7f800000, v0, s0
	s_cselect_b32 s14, -1, 0
	s_cmp_neq_f32 s1, s16
	s_delay_alu instid0(VALU_DEP_1) | instskip(SKIP_1) | instid1(SALU_CYCLE_1)
	v_cmp_class_f32_e64 s1, v0, 0x204
	s_cselect_b32 s0, -1, 0
	s_and_b32 s0, s14, s0
	s_delay_alu instid0(SALU_CYCLE_1) | instskip(SKIP_2) | instid1(VALU_DEP_2)
	v_dual_fma_f32 v1, v0, v1, v0 :: v_dual_cndmask_b32 v2, 1.0, v11, s0
	s_cmp_eq_f32 s18, s9
	v_cmp_class_f32_e64 s14, v11, 0x204
	v_cndmask_b32_e64 v0, v1, v0, s1
	s_cselect_b32 s9, -1, 0
	s_delay_alu instid0(SALU_CYCLE_1) | instskip(NEXT) | instid1(VALU_DEP_1)
	s_and_b32 s9, s9, exec_lo
	v_bfi_b32 v0, 0x7fffffff, v0, v2
	s_delay_alu instid0(VALU_DEP_1) | instskip(SKIP_4) | instid1(SALU_CYCLE_1)
	v_readfirstlane_b32 s1, v0
	v_cndmask_b32_e64 v0, 0, v11, s0
	s_cselect_b32 s9, s1, 0x7fc00000
	s_cmp_eq_f32 s7, 0
	s_cselect_b32 s0, -1, 0
	s_and_b32 s16, s0, exec_lo
	s_cselect_b32 s16, 0, 0x7f800000
	s_or_b32 s0, s0, s14
	v_bfi_b32 v0, 0x7fffffff, s16, v0
	s_cmp_lt_f32 s7, 0
	s_delay_alu instid0(VALU_DEP_1)
	v_readfirstlane_b32 s14, v0
	s_cselect_b32 s1, s9, s1
	s_and_b32 s0, s0, exec_lo
	v_cndmask_b32_e32 v0, 0, v13, vcc_lo
	s_cselect_b32 s0, s14, s1
	s_cmp_o_f32 s7, s7
	s_cselect_b32 s0, s0, 0x7fc00000
	s_cmp_lt_f32 s13, 0
	s_cselect_b32 s1, s15, s8
	s_cmp_eq_f32 s13, 0
	s_cselect_b32 s7, -1, 0
	s_delay_alu instid0(SALU_CYCLE_1) | instskip(SKIP_1) | instid1(SALU_CYCLE_1)
	s_and_b32 s8, s7, exec_lo
	s_cselect_b32 s8, 0, 0x7f800000
	v_bfi_b32 v0, 0x7fffffff, s8, v0
	v_cmp_class_f32_e64 s8, v13, 0x204
	s_delay_alu instid0(VALU_DEP_2) | instskip(SKIP_1) | instid1(SALU_CYCLE_1)
	v_readfirstlane_b32 s9, v0
	s_or_b32 s7, s7, s8
	s_and_b32 s7, s7, exec_lo
	s_cselect_b32 s1, s9, s1
	s_cmp_o_f32 s13, s13
	s_cselect_b32 s1, s1, 0x7fc00000
	s_delay_alu instid0(SALU_CYCLE_1) | instskip(NEXT) | instid1(SALU_CYCLE_3)
	s_add_f32 s0, s0, s1
	s_mul_f32 s1, s0, 0x4f800000
	s_cmp_lt_f32 s0, 0xf800000
	s_delay_alu instid0(SALU_CYCLE_2) | instskip(NEXT) | instid1(SALU_CYCLE_1)
	s_cselect_b32 s1, s1, s0
	v_s_sqrt_f32 s7, s1
	s_mov_b32 s9, s1
	s_delay_alu instid0(TRANS32_DEP_1) | instskip(NEXT) | instid1(SALU_CYCLE_1)
	s_add_co_i32 s8, s7, -1
	s_xor_b32 s13, s8, 0x80000000
	s_delay_alu instid0(SALU_CYCLE_1) | instskip(SKIP_1) | instid1(SALU_CYCLE_2)
	s_fmac_f32 s9, s13, s7
	s_mov_b32 s13, s1
	s_cmp_le_f32 s9, 0
	s_cselect_b32 s8, s8, s7
	s_add_co_i32 s9, s7, 1
	s_delay_alu instid0(SALU_CYCLE_1) | instskip(NEXT) | instid1(SALU_CYCLE_1)
	s_xor_b32 s14, s9, 0x80000000
	s_fmac_f32 s13, s14, s7
	s_delay_alu instid0(SALU_CYCLE_3) | instskip(SKIP_4) | instid1(SALU_CYCLE_2)
	s_cmp_gt_f32 s13, 0
	s_cselect_b32 s7, s9, s8
	s_cmp_lt_f32 s0, 0xf800000
	s_mul_f32 s0, s7, 0x37800000
	v_cmp_class_f32_e64 s8, s1, 0x260
	s_cselect_b32 s0, s0, s7
	s_and_b32 s7, s8, exec_lo
	s_cselect_b32 s0, s1, s0
	s_wait_loadcnt 0x0
	v_mul_f32_e32 v0, s0, v5
	s_clause 0x1
	global_store_b32 v10, v0, s[4:5] offset:4 scale_offset
	global_load_b32 v1, v12, s[4:5] scale_offset
	s_wait_loadcnt 0x0
	v_cmp_ngt_f32_e32 vcc_lo, 0, v1
	s_cbranch_vccnz .LBB1_20
; %bb.19:
	s_ashr_i32 s7, s6, 31
	s_wait_xcnt 0x1
	v_xor_b32_e32 v0, 0x80000000, v0
	s_lshl_b64 s[0:1], s[6:7], 2
	s_delay_alu instid0(SALU_CYCLE_1)
	s_add_nc_u64 s[0:1], s[4:5], s[0:1]
	global_store_b32 v4, v0, s[0:1] offset:4
.LBB1_20:
	s_mul_i32 s6, s3, s2
	s_wait_xcnt 0x0
	s_not_b32 s0, s2
	s_delay_alu instid0(SALU_CYCLE_1) | instskip(SKIP_2) | instid1(SALU_CYCLE_1)
	s_add_co_i32 s0, s0, s6
	s_mul_i32 s6, s6, 12
	s_mul_i32 s0, s0, 12
	v_mov_b32_e32 v0, s0
	global_load_b32 v10, v0, s[4:5] offset:12 scale_offset
	s_wait_loadcnt 0x0
	v_cvt_f64_f32_e64 v[0:1], |v10|
	s_delay_alu instid0(VALU_DEP_1) | instskip(SKIP_1) | instid1(VALU_DEP_1)
	v_frexp_exp_i32_f64_e32 v0, v[0:1]
	v_frexp_mant_f32_e64 v1, |v10|
	v_readfirstlane_b32 s0, v1
	s_cmp_lt_f32 s0, 0x3f2aaaab
	s_cselect_b32 vcc_lo, -1, 0
	s_delay_alu instid0(SALU_CYCLE_1) | instskip(SKIP_3) | instid1(SALU_CYCLE_3)
	s_and_b32 s1, vcc_lo, exec_lo
	s_cselect_b32 s1, 2.0, 1.0
	s_sub_co_i32 s2, s6, 20
	s_mul_f32 s0, s0, s1
	s_add_f32 s1, s0, 1.0
	s_add_f32 s7, s0, -1.0
	s_delay_alu instid0(SALU_CYCLE_2) | instskip(NEXT) | instid1(SALU_CYCLE_2)
	s_add_f32 s13, s1, -1.0
	v_mov_b32_e32 v1, s7
	s_delay_alu instid0(SALU_CYCLE_2) | instskip(SKIP_3) | instid1(VALU_DEP_2)
	s_sub_f32 s0, s0, s13
	v_subrev_co_ci_u32_e64 v16, null, 0, v0, vcc_lo
	v_mov_b32_e32 v0, s2
	v_s_rcp_f32 s2, s1
	v_cvt_f32_i32_e32 v23, v16
	s_delay_alu instid0(TRANS32_DEP_1) | instskip(NEXT) | instid1(SALU_CYCLE_3)
	s_mul_f32 s8, s7, s2
	s_mul_f32 s9, s1, s8
	s_delay_alu instid0(SALU_CYCLE_3) | instskip(SKIP_2) | instid1(SALU_CYCLE_1)
	v_mov_b32_e32 v2, s9
	global_load_b32 v11, v0, s[4:5] scale_offset
	s_xor_b32 s14, s9, 0x80000000
	s_fmac_f32 s14, s8, s1
	s_delay_alu instid0(SALU_CYCLE_3) | instskip(NEXT) | instid1(SALU_CYCLE_3)
	s_fmac_f32 s14, s8, s0
	s_add_f32 s0, s9, s14
	s_delay_alu instid0(SALU_CYCLE_3) | instskip(SKIP_2) | instid1(SALU_CYCLE_2)
	v_dual_mov_b32 v4, s14 :: v_dual_mov_b32 v5, s0
	s_sub_f32 s1, s7, s0
	s_wait_xcnt 0x0
	v_dual_mov_b32 v0, s0 :: v_dual_mov_b32 v3, s1
	s_delay_alu instid0(VALU_DEP_1) | instskip(NEXT) | instid1(VALU_DEP_1)
	v_pk_add_f32 v[0:1], v[0:1], v[2:3] neg_lo:[0,1] neg_hi:[0,1]
	v_pk_add_f32 v[0:1], v[0:1], v[4:5] neg_lo:[0,1] neg_hi:[0,1]
	s_delay_alu instid0(VALU_DEP_1) | instskip(NEXT) | instid1(VALU_DEP_2)
	v_readfirstlane_b32 s0, v1
	v_readfirstlane_b32 s7, v0
	s_add_f32 s0, s7, s0
	s_delay_alu instid0(SALU_CYCLE_3) | instskip(NEXT) | instid1(SALU_CYCLE_3)
	s_add_f32 s0, s1, s0
	s_mul_f32 s1, s2, s0
	s_delay_alu instid0(SALU_CYCLE_3) | instskip(NEXT) | instid1(SALU_CYCLE_3)
	s_add_f32 s0, s8, s1
	s_sub_f32 s2, s0, s8
	s_mul_f32 s7, s0, s0
	s_delay_alu instid0(SALU_CYCLE_2) | instskip(NEXT) | instid1(SALU_CYCLE_2)
	s_sub_f32 s2, s1, s2
	s_xor_b32 s1, s7, 0x80000000
	s_delay_alu instid0(SALU_CYCLE_1) | instskip(NEXT) | instid1(SALU_CYCLE_1)
	s_fmac_f32 s1, s0, s0
	s_add_f32 s8, s2, s2
	s_delay_alu instid0(SALU_CYCLE_3) | instskip(NEXT) | instid1(SALU_CYCLE_3)
	s_fmac_f32 s1, s0, s8
	s_add_f32 s8, s7, s1
	s_delay_alu instid0(SALU_CYCLE_3) | instskip(SKIP_1) | instid1(SALU_CYCLE_2)
	s_fmaak_f32 s9, s8, s12, 0x3e91f4c4
	s_sub_f32 s7, s8, s7
	s_fmaak_f32 s9, s8, s9, 0x3ecccdef
	s_delay_alu instid0(SALU_CYCLE_2) | instskip(NEXT) | instid1(SALU_CYCLE_2)
	s_sub_f32 s7, s1, s7
	s_mul_f32 s13, s8, s9
	s_delay_alu instid0(SALU_CYCLE_3) | instskip(NEXT) | instid1(SALU_CYCLE_1)
	s_xor_b32 s15, s13, 0x80000000
	s_fmac_f32 s15, s8, s9
	s_delay_alu instid0(SALU_CYCLE_3) | instskip(NEXT) | instid1(SALU_CYCLE_3)
	s_fmac_f32 s15, s7, s9
	s_add_f32 s9, s13, s15
	s_delay_alu instid0(SALU_CYCLE_3) | instskip(NEXT) | instid1(SALU_CYCLE_3)
	s_sub_f32 s13, s9, s13
	s_sub_f32 s13, s15, s13
	s_wait_loadcnt 0x0
	v_cvt_f64_f32_e64 v[2:3], |v11|
	v_frexp_mant_f32_e64 v1, |v11|
	s_delay_alu instid0(VALU_DEP_1) | instskip(SKIP_2) | instid1(SALU_CYCLE_1)
	v_readfirstlane_b32 s14, v1
	s_cmp_lt_f32 s14, 0x3f2aaaab
	s_cselect_b32 vcc_lo, -1, 0
	s_and_b32 s16, vcc_lo, exec_lo
	s_cselect_b32 s16, 2.0, 1.0
	s_delay_alu instid0(SALU_CYCLE_1) | instskip(NEXT) | instid1(SALU_CYCLE_3)
	s_mul_f32 s14, s14, s16
	s_add_f32 s16, s14, 1.0
	s_add_f32 s18, s14, -1.0
	s_delay_alu instid0(SALU_CYCLE_2) | instskip(SKIP_2) | instid1(SALU_CYCLE_2)
	v_s_rcp_f32 s17, s16
	s_add_f32 s21, s16, -1.0
	v_frexp_exp_i32_f64_e32 v0, v[2:3]
	s_sub_f32 s14, s14, s21
	s_add_f32 s21, s9, 0x3f2aaaaa
	s_delay_alu instid0(TRANS32_DEP_1) | instskip(NEXT) | instid1(SALU_CYCLE_2)
	s_mul_f32 s19, s18, s17
	s_add_f32 s15, s21, 0xbf2aaaaa
	s_delay_alu instid0(SALU_CYCLE_2) | instskip(SKIP_1) | instid1(SALU_CYCLE_1)
	s_mul_f32 s20, s16, s19
	v_mov_b32_e32 v1, s18
	s_sub_f32 s9, s9, s15
	s_delay_alu instid0(SALU_CYCLE_1) | instskip(SKIP_2) | instid1(SALU_CYCLE_3)
	s_xor_b32 s22, s20, 0x80000000
	v_mov_b32_e32 v2, s20
	s_fmac_f32 s22, s19, s16
	s_fmac_f32 s22, s19, s14
	s_delay_alu instid0(SALU_CYCLE_3) | instskip(NEXT) | instid1(SALU_CYCLE_3)
	s_add_f32 s14, s20, s22
	v_dual_mov_b32 v4, s22 :: v_dual_mov_b32 v5, s14
	s_sub_f32 s16, s18, s14
	s_delay_alu instid0(SALU_CYCLE_3) | instskip(SKIP_2) | instid1(VALU_DEP_1)
	v_mov_b32_e32 v3, s16
	v_subrev_co_ci_u32_e64 v17, null, 0, v0, vcc_lo
	v_mov_b32_e32 v0, s14
	v_pk_add_f32 v[0:1], v[0:1], v[2:3] neg_lo:[0,1] neg_hi:[0,1]
	v_mov_b64_e32 v[2:3], s[8:9]
	s_delay_alu instid0(VALU_DEP_2) | instskip(NEXT) | instid1(VALU_DEP_1)
	v_pk_add_f32 v[0:1], v[0:1], v[4:5] neg_lo:[0,1] neg_hi:[0,1]
	v_readfirstlane_b32 s14, v1
	s_delay_alu instid0(VALU_DEP_2) | instskip(SKIP_1) | instid1(SALU_CYCLE_3)
	v_readfirstlane_b32 s18, v0
	s_add_f32 s14, s18, s14
	s_add_f32 s14, s16, s14
	s_delay_alu instid0(SALU_CYCLE_3) | instskip(NEXT) | instid1(SALU_CYCLE_3)
	s_mul_f32 s16, s17, s14
	s_add_f32 s14, s19, s16
	s_delay_alu instid0(SALU_CYCLE_3) | instskip(SKIP_1) | instid1(SALU_CYCLE_2)
	s_sub_f32 s17, s14, s19
	s_mul_f32 s18, s14, s14
	s_sub_f32 s19, s16, s17
	s_delay_alu instid0(SALU_CYCLE_2) | instskip(NEXT) | instid1(SALU_CYCLE_1)
	s_xor_b32 s17, s18, 0x80000000
	s_fmac_f32 s17, s14, s14
	s_delay_alu instid0(SALU_CYCLE_1) | instskip(NEXT) | instid1(SALU_CYCLE_3)
	s_add_f32 s16, s19, s19
	s_fmac_f32 s17, s14, s16
	s_delay_alu instid0(SALU_CYCLE_3) | instskip(NEXT) | instid1(SALU_CYCLE_3)
	s_add_f32 s16, s18, s17
	s_fmaak_f32 s1, s16, s12, 0x3e91f4c4
	s_sub_f32 s18, s16, s18
	s_delay_alu instid0(SALU_CYCLE_2) | instskip(NEXT) | instid1(SALU_CYCLE_2)
	s_fmaak_f32 s1, s16, s1, 0x3ecccdef
	s_sub_f32 s18, s17, s18
	s_delay_alu instid0(SALU_CYCLE_2) | instskip(NEXT) | instid1(SALU_CYCLE_3)
	s_mul_f32 s12, s16, s1
	s_xor_b32 s20, s12, 0x80000000
	s_delay_alu instid0(SALU_CYCLE_1) | instskip(NEXT) | instid1(SALU_CYCLE_3)
	s_fmac_f32 s20, s16, s1
	s_fmac_f32 s20, s18, s1
	s_add_f32 s1, s13, 0x31739010
	s_delay_alu instid0(SALU_CYCLE_2) | instskip(NEXT) | instid1(SALU_CYCLE_2)
	s_add_f32 s13, s12, s20
	v_mov_b64_e32 v[0:1], s[0:1]
	s_delay_alu instid0(SALU_CYCLE_2) | instskip(SKIP_1) | instid1(SALU_CYCLE_2)
	s_sub_f32 s1, s13, s12
	s_add_f32 s12, s13, 0x3f2aaaaa
	s_sub_f32 s1, s20, s1
	s_delay_alu instid0(SALU_CYCLE_2) | instskip(NEXT) | instid1(VALU_DEP_1)
	s_add_f32 s9, s12, 0xbf2aaaaa
	v_pk_mul_f32 v[4:5], v[0:1], v[2:3]
	v_pk_add_f32 v[0:1], v[0:1], v[2:3]
	s_add_f32 s15, s1, 0x31739010
	s_sub_f32 s17, s13, s9
	v_mov_b32_e32 v13, s21
	v_xor_b32_e32 v12, 0x80000000, v4
	v_mov_b64_e32 v[6:7], s[14:15]
	v_mov_b64_e32 v[8:9], s[16:17]
	v_dual_mov_b32 v5, v1 :: v_dual_mul_f32 v0, 0x3f317218, v23
	v_mov_b32_e32 v3, s12
	v_fmac_f32_e64 v12, s8, s0
	s_delay_alu instid0(VALU_DEP_4) | instskip(SKIP_1) | instid1(VALU_DEP_3)
	v_pk_mul_f32 v[14:15], v[6:7], v[8:9]
	v_pk_add_f32 v[6:7], v[6:7], v[8:9]
	v_fmac_f32_e64 v12, s8, s2
	v_xor_b32_e32 v16, 0x80000000, v0
	v_readfirstlane_b32 s8, v11
	v_xor_b32_e32 v2, 0x80000000, v14
	s_delay_alu instid0(VALU_DEP_4) | instskip(SKIP_1) | instid1(VALU_DEP_3)
	v_fmac_f32_e64 v12, s7, s0
	v_readfirstlane_b32 s7, v10
	v_fmac_f32_e64 v2, s16, s14
	s_delay_alu instid0(VALU_DEP_3) | instskip(SKIP_1) | instid1(VALU_DEP_3)
	v_pk_add_f32 v[8:9], v[4:5], v[12:13]
	v_dual_mov_b32 v15, v7 :: v_dual_fmac_f32 v16, 0x3f317218, v23
	v_fmac_f32_e64 v2, s16, s19
	s_cmp_eq_f32 s7, 1.0
	s_delay_alu instid0(VALU_DEP_3) | instskip(NEXT) | instid1(VALU_DEP_2)
	v_dual_mov_b32 v6, v9 :: v_dual_sub_f32 v13, v8, v4
	v_fmac_f32_e64 v2, s18, s14
	s_delay_alu instid0(VALU_DEP_2) | instskip(NEXT) | instid1(VALU_DEP_2)
	v_pk_mul_f32 v[20:21], v[8:9], v[6:7]
	v_pk_add_f32 v[18:19], v[14:15], v[2:3]
	v_sub_f32_e32 v3, s21, v9
	s_delay_alu instid0(VALU_DEP_3) | instskip(SKIP_1) | instid1(VALU_DEP_3)
	v_xor_b32_e32 v22, 0x80000000, v20
	v_fmac_f32_e32 v16, 0xb102e308, v23
	v_dual_mov_b32 v6, v19 :: v_dual_add_f32 v1, v1, v3
	s_delay_alu instid0(VALU_DEP_3) | instskip(SKIP_1) | instid1(VALU_DEP_3)
	v_fmac_f32_e32 v22, v8, v9
	v_dual_sub_f32 v3, v12, v13 :: v_dual_sub_f32 v12, s12, v19
	v_pk_mul_f32 v[4:5], v[18:19], v[6:7]
	v_cvt_f32_i32_e32 v5, v17
	s_delay_alu instid0(VALU_DEP_4) | instskip(SKIP_1) | instid1(VALU_DEP_4)
	v_dual_fmac_f32 v22, v8, v1 :: v_dual_sub_f32 v1, v18, v14
	v_ldexp_f32 v17, s0, 1
	v_xor_b32_e32 v6, 0x80000000, v4
	s_delay_alu instid0(VALU_DEP_4) | instskip(NEXT) | instid1(VALU_DEP_3)
	v_dual_mul_f32 v8, 0x3f317218, v5 :: v_dual_add_f32 v7, v7, v12
	v_dual_fmac_f32 v22, v3, v9 :: v_dual_mov_b32 v21, v17
	s_delay_alu instid0(VALU_DEP_3) | instskip(SKIP_1) | instid1(VALU_DEP_4)
	v_fmac_f32_e32 v6, v18, v19
	v_sub_f32_e32 v2, v2, v1
	v_xor_b32_e32 v12, 0x80000000, v8
	s_delay_alu instid0(VALU_DEP_4) | instskip(SKIP_1) | instid1(VALU_DEP_2)
	v_add_f32_e32 v1, v20, v22
	v_ldexp_f32 v13, s14, 1
	v_dual_fmac_f32 v6, v18, v7 :: v_dual_mov_b32 v14, v1
	s_delay_alu instid0(VALU_DEP_1) | instskip(SKIP_2) | instid1(VALU_DEP_2)
	v_dual_mov_b32 v23, v1 :: v_dual_fmac_f32 v6, v2, v19
	v_pk_add_f32 v[2:3], v[0:1], v[16:17]
	v_ldexp_f32 v1, s2, 1
	v_dual_mov_b32 v15, v3 :: v_dual_fmac_f32 v12, 0x3f317218, v5
	s_delay_alu instid0(VALU_DEP_3) | instskip(SKIP_1) | instid1(VALU_DEP_3)
	v_dual_add_f32 v9, v4, v6 :: v_dual_mov_b32 v17, v2
	v_mov_b32_e32 v28, v3
	v_pk_add_f32 v[14:15], v[14:15], v[20:21] neg_lo:[0,1] neg_hi:[0,1]
	s_delay_alu instid0(VALU_DEP_4) | instskip(NEXT) | instid1(VALU_DEP_4)
	v_dual_fmac_f32 v12, 0xb102e308, v5 :: v_dual_mov_b32 v5, v13
	v_dual_mov_b32 v20, v9 :: v_dual_mov_b32 v7, v9
	s_delay_alu instid0(VALU_DEP_3) | instskip(NEXT) | instid1(VALU_DEP_3)
	v_pk_add_f32 v[14:15], v[22:23], v[14:15] neg_lo:[0,1] neg_hi:[0,1]
	v_pk_add_f32 v[18:19], v[8:9], v[12:13]
	v_ldexp_f32 v9, s19, 1
	s_delay_alu instid0(VALU_DEP_2) | instskip(NEXT) | instid1(VALU_DEP_1)
	v_dual_add_f32 v1, v1, v14 :: v_dual_mov_b32 v21, v19
	v_pk_add_f32 v[4:5], v[20:21], v[4:5] neg_lo:[0,1] neg_hi:[0,1]
	s_delay_alu instid0(VALU_DEP_1) | instskip(NEXT) | instid1(VALU_DEP_1)
	v_pk_add_f32 v[4:5], v[6:7], v[4:5] neg_lo:[0,1] neg_hi:[0,1]
	v_add_f32_e32 v4, v9, v4
	s_delay_alu instid0(VALU_DEP_1) | instskip(NEXT) | instid1(VALU_DEP_1)
	v_dual_add_f32 v1, v1, v15 :: v_dual_add_f32 v9, v4, v5
	v_pk_add_f32 v[6:7], v[2:3], v[0:1]
	v_pk_add_f32 v[14:15], v[2:3], v[0:1] neg_lo:[0,1] neg_hi:[0,1]
	s_delay_alu instid0(VALU_DEP_3) | instskip(NEXT) | instid1(VALU_DEP_3)
	v_pk_add_f32 v[4:5], v[18:19], v[8:9]
	v_mov_b32_e32 v15, v7
	v_pk_add_f32 v[22:23], v[18:19], v[8:9] neg_lo:[0,1] neg_hi:[0,1]
	s_delay_alu instid0(VALU_DEP_3) | instskip(NEXT) | instid1(VALU_DEP_3)
	v_dual_mov_b32 v13, v18 :: v_dual_mov_b32 v23, v5
	v_pk_add_f32 v[20:21], v[16:17], v[14:15]
	v_mov_b32_e32 v20, v7
	v_pk_add_f32 v[14:15], v[16:17], v[14:15] neg_lo:[0,1] neg_hi:[0,1]
	s_delay_alu instid0(VALU_DEP_4) | instskip(NEXT) | instid1(VALU_DEP_4)
	v_pk_add_f32 v[24:25], v[12:13], v[22:23]
	v_dual_mov_b32 v0, v21 :: v_dual_mov_b32 v24, v5
	v_mov_b32_e32 v15, v21
	s_delay_alu instid0(VALU_DEP_2) | instskip(NEXT) | instid1(VALU_DEP_4)
	v_pk_add_f32 v[26:27], v[0:1], v[2:3] neg_lo:[0,1] neg_hi:[0,1]
	v_dual_mov_b32 v0, v25 :: v_dual_mov_b32 v3, v2
	s_delay_alu instid0(VALU_DEP_2) | instskip(SKIP_1) | instid1(VALU_DEP_3)
	v_dual_mov_b32 v2, v1 :: v_dual_mov_b32 v29, v26
	v_mov_b32_e32 v27, v26
	v_pk_add_f32 v[0:1], v[0:1], v[18:19] neg_lo:[0,1] neg_hi:[0,1]
	s_delay_alu instid0(VALU_DEP_3) | instskip(NEXT) | instid1(VALU_DEP_3)
	v_pk_add_f32 v[16:17], v[20:21], v[28:29] neg_lo:[0,1] neg_hi:[0,1]
	v_pk_add_f32 v[6:7], v[6:7], v[26:27] neg_lo:[0,1] neg_hi:[0,1]
	s_delay_alu instid0(VALU_DEP_3) | instskip(SKIP_3) | instid1(VALU_DEP_4)
	v_dual_mov_b32 v26, v19 :: v_dual_mov_b32 v27, v0
	v_dual_mov_b32 v19, v18 :: v_dual_mov_b32 v18, v9
	v_mov_b32_e32 v9, v0
	v_pk_add_f32 v[0:1], v[12:13], v[22:23] neg_lo:[0,1] neg_hi:[0,1]
	v_pk_add_f32 v[12:13], v[24:25], v[26:27] neg_lo:[0,1] neg_hi:[0,1]
	;; [unrolled: 1-line block ×3, first 2 shown]
	v_mov_b32_e32 v6, v14
	v_pk_add_f32 v[2:3], v[4:5], v[8:9] neg_lo:[0,1] neg_hi:[0,1]
	v_mov_b32_e32 v2, v0
	v_pk_add_f32 v[4:5], v[18:19], v[12:13] neg_lo:[0,1] neg_hi:[0,1]
	v_mov_b32_e32 v20, v25
	v_pk_add_f32 v[6:7], v[6:7], v[16:17]
	s_delay_alu instid0(VALU_DEP_3) | instskip(NEXT) | instid1(VALU_DEP_2)
	v_pk_add_f32 v[8:9], v[2:3], v[4:5]
	v_dual_mov_b32 v13, v6 :: v_dual_mov_b32 v3, v7
	s_delay_alu instid0(VALU_DEP_2) | instskip(NEXT) | instid1(VALU_DEP_1)
	v_dual_mov_b32 v12, v8 :: v_dual_mov_b32 v2, v9
	v_pk_add_f32 v[18:19], v[12:13], v[2:3]
	s_delay_alu instid0(VALU_DEP_1) | instskip(SKIP_1) | instid1(VALU_DEP_2)
	v_pk_add_f32 v[2:3], v[20:21], v[18:19]
	v_dual_mov_b32 v1, v25 :: v_dual_mov_b32 v17, v19
	v_dual_mov_b32 v7, v3 :: v_dual_mov_b32 v9, v2
	s_delay_alu instid0(VALU_DEP_1) | instskip(NEXT) | instid1(VALU_DEP_2)
	v_pk_add_f32 v[20:21], v[6:7], v[14:15] neg_lo:[0,1] neg_hi:[0,1]
	v_pk_add_f32 v[8:9], v[8:9], v[0:1] neg_lo:[0,1] neg_hi:[0,1]
	v_dual_mov_b32 v5, v18 :: v_dual_mov_b32 v1, v14
	s_delay_alu instid0(VALU_DEP_2) | instskip(NEXT) | instid1(VALU_DEP_2)
	v_dual_mov_b32 v19, v20 :: v_dual_mov_b32 v18, v8
	v_pk_add_f32 v[6:7], v[4:5], v[8:9] neg_lo:[0,1] neg_hi:[0,1]
	v_mov_b32_e32 v14, s3
	v_pk_add_f32 v[4:5], v[16:17], v[20:21] neg_lo:[0,1] neg_hi:[0,1]
	s_cselect_b32 s3, 1.0, 2.0
	v_pk_add_f32 v[8:9], v[12:13], v[18:19] neg_lo:[0,1] neg_hi:[0,1]
	v_mov_b32_e32 v12, v6
	global_load_b32 v14, v14, s[10:11] scale_offset
	v_dual_mov_b32 v13, v4 :: v_dual_mov_b32 v4, v7
	v_pk_add_f32 v[0:1], v[0:1], v[8:9] neg_lo:[0,1] neg_hi:[0,1]
	s_cmp_eq_f32 s8, 1.0
	s_delay_alu instid0(VALU_DEP_1) | instskip(SKIP_1) | instid1(SALU_CYCLE_1)
	v_pk_add_f32 v[0:1], v[12:13], v[0:1]
	s_cselect_b32 s2, 1.0, 2.0
	v_mov_b64_e32 v[6:7], s[2:3]
	s_delay_alu instid0(VALU_DEP_2) | instskip(NEXT) | instid1(VALU_DEP_1)
	v_pk_add_f32 v[0:1], v[0:1], v[4:5]
	v_pk_add_f32 v[4:5], v[2:3], v[0:1]
	s_delay_alu instid0(VALU_DEP_1) | instskip(NEXT) | instid1(VALU_DEP_4)
	v_pk_add_f32 v[2:3], v[4:5], v[2:3] neg_lo:[0,1] neg_hi:[0,1]
	v_pk_mul_f32 v[8:9], v[6:7], v[4:5]
	s_delay_alu instid0(VALU_DEP_2) | instskip(NEXT) | instid1(VALU_DEP_2)
	v_pk_add_f32 v[0:1], v[0:1], v[2:3] neg_lo:[0,1] neg_hi:[0,1]
	v_pk_fma_f32 v[2:3], v[6:7], v[4:5], v[8:9] neg_lo:[0,0,1] neg_hi:[0,0,1]
	v_readfirstlane_b32 s0, v8
	s_delay_alu instid0(VALU_DEP_2) | instskip(NEXT) | instid1(VALU_DEP_2)
	v_pk_fma_f32 v[0:1], v[6:7], v[0:1], v[2:3]
	v_cmp_class_f32_e64 s1, s0, 0x204
	s_delay_alu instid0(VALU_DEP_2) | instskip(SKIP_1) | instid1(VALU_DEP_1)
	v_pk_add_f32 v[2:3], v[8:9], v[0:1]
	s_and_b32 s1, s1, exec_lo
	v_readfirstlane_b32 s9, v2
	s_delay_alu instid0(VALU_DEP_2) | instskip(SKIP_1) | instid1(VALU_DEP_1)
	v_pk_add_f32 v[4:5], v[2:3], v[8:9] neg_lo:[0,1] neg_hi:[0,1]
	s_cselect_b32 s0, s0, s9
	v_pk_add_f32 v[0:1], v[0:1], v[4:5] neg_lo:[0,1] neg_hi:[0,1]
	s_and_b32 s1, s0, 0x7fffffff
	s_delay_alu instid0(SALU_CYCLE_1) | instskip(SKIP_3) | instid1(SALU_CYCLE_1)
	s_cmp_neq_f32 s1, 0x7f800000
	s_cselect_b32 vcc_lo, -1, 0
	s_cmp_eq_f32 s0, 0x42b17218
	s_cselect_b32 s1, 0x37000000, 0
	s_sub_f32 s9, s0, s1
	s_delay_alu instid0(SALU_CYCLE_3) | instskip(SKIP_1) | instid1(SALU_CYCLE_2)
	s_mul_f32 s0, s9, 0x3fb8aa3b
	s_wait_xcnt 0x0
	s_xor_b32 s10, s0, 0x80000000
	s_rndne_f32 s11, s0
	s_fmamk_f32 s10, s9, 0x3fb8aa3b, s10
	s_cmp_nlt_f32 s9, 0xc2ce8ed0
	s_delay_alu instid0(SALU_CYCLE_1) | instskip(NEXT) | instid1(SALU_CYCLE_1)
	s_sub_f32 s0, s0, s11
	s_fmamk_f32 s10, s9, 0x32a5705f, s10
	s_delay_alu instid0(SALU_CYCLE_3) | instskip(SKIP_2) | instid1(SALU_CYCLE_1)
	s_add_f32 s0, s0, s10
	s_cvt_i32_f32 s10, s11
	s_trunc_f32 s11, s2
	v_s_exp_f32 s0, s0
	v_nop
	s_delay_alu instid0(TRANS32_DEP_1) | instskip(SKIP_3) | instid1(VALU_DEP_1)
	v_ldexp_f32 v2, s0, s10
	s_cselect_b32 s0, -1, 0
	s_cmp_ngt_f32 s9, 0x42b17218
	s_mul_f32 s9, s2, 0.5
	v_dual_cndmask_b32 v0, 0, v0, vcc_lo :: v_dual_cndmask_b32 v2, 0, v2, s0
	s_cselect_b32 vcc_lo, -1, 0
	s_cmp_eq_f32 s11, s2
	s_trunc_f32 s0, s9
	s_delay_alu instid0(VALU_DEP_1)
	v_add_f32_e32 v0, s1, v0
	v_cndmask_b32_e32 v2, 0x7f800000, v2, vcc_lo
	s_cselect_b32 s1, -1, 0
	s_cmp_neq_f32 s0, s9
	v_readfirstlane_b32 s9, v3
	s_cselect_b32 s0, -1, 0
	s_delay_alu instid0(SALU_CYCLE_1) | instskip(SKIP_3) | instid1(VALU_DEP_1)
	s_and_b32 vcc_lo, s1, s0
	v_cmp_class_f32_e64 s0, v2, 0x204
	v_dual_cndmask_b32 v4, 1.0, v11, vcc_lo :: v_dual_fma_f32 v0, v2, v0, v2
	s_cmp_eq_f32 s11, s2
	v_cndmask_b32_e64 v0, v0, v2, s0
	v_readfirstlane_b32 s0, v9
	s_cselect_b32 s10, -1, 0
	s_delay_alu instid0(SALU_CYCLE_1) | instskip(SKIP_2) | instid1(VALU_DEP_2)
	s_and_b32 s10, s10, exec_lo
	v_bfi_b32 v0, 0x7fffffff, v0, v4
	v_cmp_class_f32_e64 s1, s0, 0x204
	v_readfirstlane_b32 s2, v0
	s_cselect_b32 s10, s2, 0x7fc00000
	s_and_b32 s1, s1, exec_lo
	s_cselect_b32 s1, s0, s9
	s_delay_alu instid0(SALU_CYCLE_1) | instskip(NEXT) | instid1(SALU_CYCLE_1)
	s_and_b32 s0, s1, 0x7fffffff
	s_cmp_neq_f32 s0, 0x7f800000
	s_cselect_b32 s0, -1, 0
	s_cmp_eq_f32 s1, 0x42b17218
	v_cndmask_b32_e64 v1, 0, v1, s0
	s_cselect_b32 s9, 0x37000000, 0
	s_delay_alu instid0(SALU_CYCLE_1) | instskip(NEXT) | instid1(VALU_DEP_1)
	s_sub_f32 s11, s1, s9
	v_add_f32_e32 v1, s9, v1
	s_delay_alu instid0(SALU_CYCLE_2) | instskip(NEXT) | instid1(SALU_CYCLE_3)
	s_mul_f32 s1, s11, 0x3fb8aa3b
	s_xor_b32 s12, s1, 0x80000000
	s_rndne_f32 s13, s1
	s_fmamk_f32 s12, s11, 0x3fb8aa3b, s12
	s_cmp_nlt_f32 s11, 0xc2ce8ed0
	s_delay_alu instid0(SALU_CYCLE_1) | instskip(NEXT) | instid1(SALU_CYCLE_1)
	s_sub_f32 s1, s1, s13
	s_fmamk_f32 s12, s11, 0x32a5705f, s12
	s_delay_alu instid0(SALU_CYCLE_3) | instskip(SKIP_2) | instid1(SALU_CYCLE_1)
	s_add_f32 s1, s1, s12
	s_cvt_i32_f32 s12, s13
	s_trunc_f32 s13, s3
	v_s_exp_f32 s1, s1
	v_nop
	s_delay_alu instid0(TRANS32_DEP_1) | instskip(SKIP_3) | instid1(VALU_DEP_1)
	v_ldexp_f32 v0, s1, s12
	s_cselect_b32 s1, -1, 0
	s_cmp_ngt_f32 s11, 0x42b17218
	s_mul_f32 s11, s3, 0.5
	v_cndmask_b32_e64 v0, 0, v0, s1
	s_cselect_b32 s0, -1, 0
	s_cmp_eq_f32 s13, s3
	s_trunc_f32 s1, s11
	s_delay_alu instid0(VALU_DEP_1) | instskip(SKIP_1) | instid1(SALU_CYCLE_1)
	v_cndmask_b32_e64 v0, 0x7f800000, v0, s0
	s_cselect_b32 s9, -1, 0
	s_cmp_neq_f32 s1, s11
	s_delay_alu instid0(VALU_DEP_1) | instskip(SKIP_1) | instid1(SALU_CYCLE_1)
	v_cmp_class_f32_e64 s1, v0, 0x204
	s_cselect_b32 s0, -1, 0
	s_and_b32 s0, s9, s0
	s_delay_alu instid0(SALU_CYCLE_1) | instskip(SKIP_2) | instid1(VALU_DEP_2)
	v_dual_fma_f32 v1, v0, v1, v0 :: v_dual_cndmask_b32 v2, 1.0, v10, s0
	s_cmp_eq_f32 s13, s3
	v_cmp_class_f32_e64 s9, v10, 0x204
	v_cndmask_b32_e64 v0, v1, v0, s1
	s_cselect_b32 s3, -1, 0
	s_delay_alu instid0(SALU_CYCLE_1) | instskip(NEXT) | instid1(VALU_DEP_1)
	s_and_b32 s3, s3, exec_lo
	v_bfi_b32 v0, 0x7fffffff, v0, v2
	s_delay_alu instid0(VALU_DEP_1) | instskip(SKIP_4) | instid1(SALU_CYCLE_1)
	v_readfirstlane_b32 s1, v0
	v_cndmask_b32_e64 v0, 0, v10, s0
	s_cselect_b32 s3, s1, 0x7fc00000
	s_cmp_eq_f32 s7, 0
	s_cselect_b32 s0, -1, 0
	s_and_b32 s11, s0, exec_lo
	s_cselect_b32 s11, 0, 0x7f800000
	s_or_b32 s0, s0, s9
	v_bfi_b32 v0, 0x7fffffff, s11, v0
	s_cmp_lt_f32 s7, 0
	s_delay_alu instid0(VALU_DEP_1)
	v_readfirstlane_b32 s9, v0
	s_cselect_b32 s1, s3, s1
	s_and_b32 s0, s0, exec_lo
	v_cndmask_b32_e32 v0, 0, v11, vcc_lo
	v_cmp_ngt_f32_e32 vcc_lo, 0, v11
	s_cselect_b32 s0, s9, s1
	s_cmp_o_f32 s7, s7
	s_cselect_b32 s0, s0, 0x7fc00000
	s_cmp_lt_f32 s8, 0
	s_cselect_b32 s1, s10, s2
	s_cmp_eq_f32 s8, 0
	s_cselect_b32 s2, -1, 0
	s_delay_alu instid0(SALU_CYCLE_1) | instskip(SKIP_1) | instid1(SALU_CYCLE_1)
	s_and_b32 s3, s2, exec_lo
	s_cselect_b32 s3, 0, 0x7f800000
	v_bfi_b32 v0, 0x7fffffff, s3, v0
	v_cmp_class_f32_e64 s3, v11, 0x204
	s_delay_alu instid0(VALU_DEP_2) | instskip(SKIP_1) | instid1(SALU_CYCLE_1)
	v_readfirstlane_b32 s7, v0
	s_or_b32 s2, s2, s3
	s_and_b32 s2, s2, exec_lo
	s_cselect_b32 s1, s7, s1
	s_cmp_o_f32 s8, s8
	s_cselect_b32 s1, s1, 0x7fc00000
	s_delay_alu instid0(SALU_CYCLE_1) | instskip(NEXT) | instid1(SALU_CYCLE_3)
	s_add_f32 s0, s0, s1
	s_mul_f32 s1, s0, 0x4f800000
	s_cmp_lt_f32 s0, 0xf800000
	s_delay_alu instid0(SALU_CYCLE_2) | instskip(NEXT) | instid1(SALU_CYCLE_1)
	s_cselect_b32 s1, s1, s0
	v_s_sqrt_f32 s2, s1
	s_mov_b32 s7, s1
	s_delay_alu instid0(TRANS32_DEP_1) | instskip(NEXT) | instid1(SALU_CYCLE_1)
	s_add_co_i32 s3, s2, -1
	s_xor_b32 s8, s3, 0x80000000
	s_delay_alu instid0(SALU_CYCLE_1) | instskip(SKIP_1) | instid1(SALU_CYCLE_2)
	s_fmac_f32 s7, s8, s2
	s_mov_b32 s8, s1
	s_cmp_le_f32 s7, 0
	s_cselect_b32 s3, s3, s2
	s_add_co_i32 s7, s2, 1
	s_delay_alu instid0(SALU_CYCLE_1) | instskip(NEXT) | instid1(SALU_CYCLE_1)
	s_xor_b32 s9, s7, 0x80000000
	s_fmac_f32 s8, s9, s2
	v_cmp_class_f32_e64 s2, s1, 0x260
	s_delay_alu instid0(SALU_CYCLE_2) | instskip(SKIP_3) | instid1(SALU_CYCLE_3)
	s_cmp_gt_f32 s8, 0
	s_cselect_b32 s3, s7, s3
	s_cmp_lt_f32 s0, 0xf800000
	s_mul_f32 s0, s3, 0x37800000
	s_cselect_b32 s0, s0, s3
	s_and_b32 s2, s2, exec_lo
	s_cselect_b32 s1, s1, s0
	s_add_co_i32 s0, s6, -12
	s_wait_loadcnt 0x0
	v_dual_mul_f32 v0, s1, v14 :: v_dual_mov_b32 v1, s0
	global_store_b32 v1, v0, s[4:5] offset:4 scale_offset
	s_cbranch_vccnz .LBB1_22
; %bb.21:
	s_ashr_i32 s1, s0, 31
	s_wait_xcnt 0x0
	v_xor_b32_e32 v0, 0x80000000, v0
	v_mov_b32_e32 v1, 0
	s_lshl_b64 s[0:1], s[0:1], 2
	s_delay_alu instid0(SALU_CYCLE_1)
	s_add_nc_u64 s[0:1], s[4:5], s[0:1]
	global_store_b32 v1, v0, s[0:1] offset:4
.LBB1_22:
	s_endpgm
	.section	.rodata,"a",@progbits
	.p2align	6, 0x0
	.amdhsa_kernel _Z7kernel2PfPKfS1_S1_S1_iiiiii
		.amdhsa_group_segment_fixed_size 0
		.amdhsa_private_segment_fixed_size 0
		.amdhsa_kernarg_size 64
		.amdhsa_user_sgpr_count 2
		.amdhsa_user_sgpr_dispatch_ptr 0
		.amdhsa_user_sgpr_queue_ptr 0
		.amdhsa_user_sgpr_kernarg_segment_ptr 1
		.amdhsa_user_sgpr_dispatch_id 0
		.amdhsa_user_sgpr_kernarg_preload_length 0
		.amdhsa_user_sgpr_kernarg_preload_offset 0
		.amdhsa_user_sgpr_private_segment_size 0
		.amdhsa_wavefront_size32 1
		.amdhsa_uses_dynamic_stack 0
		.amdhsa_enable_private_segment 0
		.amdhsa_system_sgpr_workgroup_id_x 1
		.amdhsa_system_sgpr_workgroup_id_y 0
		.amdhsa_system_sgpr_workgroup_id_z 0
		.amdhsa_system_sgpr_workgroup_info 0
		.amdhsa_system_vgpr_workitem_id 0
		.amdhsa_next_free_vgpr 34
		.amdhsa_next_free_sgpr 45
		.amdhsa_named_barrier_count 0
		.amdhsa_reserve_vcc 1
		.amdhsa_float_round_mode_32 0
		.amdhsa_float_round_mode_16_64 0
		.amdhsa_float_denorm_mode_32 3
		.amdhsa_float_denorm_mode_16_64 3
		.amdhsa_fp16_overflow 0
		.amdhsa_memory_ordered 1
		.amdhsa_forward_progress 1
		.amdhsa_inst_pref_size 192
		.amdhsa_round_robin_scheduling 0
		.amdhsa_exception_fp_ieee_invalid_op 0
		.amdhsa_exception_fp_denorm_src 0
		.amdhsa_exception_fp_ieee_div_zero 0
		.amdhsa_exception_fp_ieee_overflow 0
		.amdhsa_exception_fp_ieee_underflow 0
		.amdhsa_exception_fp_ieee_inexact 0
		.amdhsa_exception_int_div_zero 0
	.end_amdhsa_kernel
	.text
.Lfunc_end1:
	.size	_Z7kernel2PfPKfS1_S1_S1_iiiiii, .Lfunc_end1-_Z7kernel2PfPKfS1_S1_S1_iiiiii
                                        ; -- End function
	.set _Z7kernel2PfPKfS1_S1_S1_iiiiii.num_vgpr, 34
	.set _Z7kernel2PfPKfS1_S1_S1_iiiiii.num_agpr, 0
	.set _Z7kernel2PfPKfS1_S1_S1_iiiiii.numbered_sgpr, 45
	.set _Z7kernel2PfPKfS1_S1_S1_iiiiii.num_named_barrier, 0
	.set _Z7kernel2PfPKfS1_S1_S1_iiiiii.private_seg_size, 0
	.set _Z7kernel2PfPKfS1_S1_S1_iiiiii.uses_vcc, 1
	.set _Z7kernel2PfPKfS1_S1_S1_iiiiii.uses_flat_scratch, 0
	.set _Z7kernel2PfPKfS1_S1_S1_iiiiii.has_dyn_sized_stack, 0
	.set _Z7kernel2PfPKfS1_S1_S1_iiiiii.has_recursion, 0
	.set _Z7kernel2PfPKfS1_S1_S1_iiiiii.has_indirect_call, 0
	.section	.AMDGPU.csdata,"",@progbits
; Kernel info:
; codeLenInByte = 24572
; TotalNumSgprs: 47
; NumVgprs: 34
; ScratchSize: 0
; MemoryBound: 0
; FloatMode: 240
; IeeeMode: 1
; LDSByteSize: 0 bytes/workgroup (compile time only)
; SGPRBlocks: 0
; VGPRBlocks: 2
; NumSGPRsForWavesPerEU: 47
; NumVGPRsForWavesPerEU: 34
; NamedBarCnt: 0
; Occupancy: 16
; WaveLimiterHint : 0
; COMPUTE_PGM_RSRC2:SCRATCH_EN: 0
; COMPUTE_PGM_RSRC2:USER_SGPR: 2
; COMPUTE_PGM_RSRC2:TRAP_HANDLER: 0
; COMPUTE_PGM_RSRC2:TGID_X_EN: 1
; COMPUTE_PGM_RSRC2:TGID_Y_EN: 0
; COMPUTE_PGM_RSRC2:TGID_Z_EN: 0
; COMPUTE_PGM_RSRC2:TIDIG_COMP_CNT: 0
	.text
	.protected	_Z7kernel3PfS_iiiii     ; -- Begin function _Z7kernel3PfS_iiiii
	.globl	_Z7kernel3PfS_iiiii
	.p2align	8
	.type	_Z7kernel3PfS_iiiii,@function
_Z7kernel3PfS_iiiii:                    ; @_Z7kernel3PfS_iiiii
; %bb.0:
	s_clause 0x1
	s_load_b32 s2, s[0:1], 0x34
	s_load_b128 s[4:7], s[0:1], 0x10
	s_bfe_u32 s8, ttmp6, 0x4000c
	s_bfe_u32 s9, ttmp6, 0x40010
	s_add_co_i32 s8, s8, 1
	s_add_co_i32 s9, s9, 1
	s_and_b32 s3, ttmp6, 15
	s_bfe_u32 s10, ttmp6, 0x40004
	s_mul_i32 s8, ttmp9, s8
	s_mul_i32 s9, ttmp7, s9
	s_getreg_b32 s11, hwreg(HW_REG_IB_STS2, 6, 4)
	s_add_co_i32 s3, s3, s8
	s_add_co_i32 s10, s10, s9
	v_and_b32_e32 v2, 0x3ff, v0
	v_bfe_u32 v0, v0, 10, 10
	s_wait_kmcnt 0x0
	s_lshr_b32 s8, s2, 16
	s_and_b32 s2, s2, 0xffff
	s_cmp_eq_u32 s11, 0
	s_cselect_b32 s9, ttmp7, s10
	s_cselect_b32 s3, ttmp9, s3
	s_mul_i32 s9, s9, s8
	s_mul_i32 s3, s3, s2
	v_add3_u32 v1, s9, s4, v0
	v_add3_u32 v0, s3, s5, v2
	s_delay_alu instid0(VALU_DEP_2) | instskip(NEXT) | instid1(VALU_DEP_2)
	v_cmp_ge_i32_e32 vcc_lo, s6, v1
	v_cmp_ge_i32_e64 s2, s7, v0
	s_and_b32 s2, s2, vcc_lo
	s_delay_alu instid0(SALU_CYCLE_1)
	s_and_saveexec_b32 s3, s2
	s_cbranch_execz .LBB2_5
; %bb.1:
	s_load_b32 s2, s[0:1], 0x20
	v_add_nc_u32_e32 v1, -1, v1
	s_wait_xcnt 0x0
	s_load_b64 s[0:1], s[0:1], 0x0
	s_wait_kmcnt 0x0
	s_delay_alu instid0(VALU_DEP_1) | instskip(NEXT) | instid1(VALU_DEP_1)
	v_mad_u32 v4, v1, s2, v0
	v_add_nc_u32_e32 v0, -1, v4
	s_delay_alu instid0(VALU_DEP_1) | instskip(SKIP_2) | instid1(VALU_DEP_2)
	v_add_nc_u32_e32 v1, s2, v0
	v_mul_lo_u32 v0, v0, 12
	s_mov_b32 s2, exec_lo
	v_mul_lo_u32 v2, v1, 12
	s_clause 0x1
	global_load_b32 v5, v0, s[0:1] scale_offset
	global_load_b32 v3, v2, s[0:1] scale_offset
	v_ashrrev_i32_e32 v1, 31, v0
	s_wait_xcnt 0x1
	s_delay_alu instid0(VALU_DEP_1) | instskip(SKIP_2) | instid1(VALU_DEP_1)
	v_lshl_add_u64 v[0:1], v[0:1], 2, s[0:1]
	s_wait_loadcnt 0x0
	v_mul_f32_e32 v3, v5, v3
	v_cmpx_neq_f32_e32 0, v3
	s_cbranch_execz .LBB2_3
; %bb.2:
	v_ashrrev_i32_e32 v3, 31, v2
	s_delay_alu instid0(VALU_DEP_1)
	v_lshl_add_u64 v[2:3], v[2:3], 2, s[0:1]
	s_clause 0x3
	global_load_b32 v6, v[0:1], off offset:24
	global_load_b32 v7, v[2:3], off offset:4
	;; [unrolled: 1-line block ×4, first 2 shown]
	s_wait_loadcnt 0x1
	s_wait_xcnt 0x2
	v_sub_f32_e32 v2, v7, v8
	s_wait_loadcnt 0x0
	s_delay_alu instid0(VALU_DEP_1)
	v_fma_f32 v2, -v6, v2, v9
	global_store_b32 v[0:1], v2, off offset:12
.LBB2_3:
	s_wait_xcnt 0x0
	s_or_b32 exec_lo, exec_lo, s2
	v_mul_lo_u32 v2, v4, 12
	global_load_b32 v3, v2, s[0:1] scale_offset
	s_wait_loadcnt 0x0
	v_mul_f32_e32 v3, v5, v3
	s_delay_alu instid0(VALU_DEP_1)
	v_cmp_neq_f32_e32 vcc_lo, 0, v3
	s_wait_xcnt 0x0
	s_and_b32 exec_lo, exec_lo, vcc_lo
	s_cbranch_execz .LBB2_5
; %bb.4:
	v_ashrrev_i32_e32 v3, 31, v2
	s_delay_alu instid0(VALU_DEP_1)
	v_lshl_add_u64 v[2:3], v[2:3], 2, s[0:1]
	s_clause 0x3
	global_load_b32 v4, v[0:1], off offset:32
	global_load_b32 v5, v[2:3], off offset:4
	;; [unrolled: 1-line block ×4, first 2 shown]
	s_wait_loadcnt 0x1
	s_wait_xcnt 0x2
	v_sub_f32_e32 v2, v5, v6
	s_wait_loadcnt 0x0
	s_delay_alu instid0(VALU_DEP_1)
	v_fma_f32 v2, -v4, v2, v7
	global_store_b32 v[0:1], v2, off offset:16
.LBB2_5:
	s_endpgm
	.section	.rodata,"a",@progbits
	.p2align	6, 0x0
	.amdhsa_kernel _Z7kernel3PfS_iiiii
		.amdhsa_group_segment_fixed_size 0
		.amdhsa_private_segment_fixed_size 0
		.amdhsa_kernarg_size 296
		.amdhsa_user_sgpr_count 2
		.amdhsa_user_sgpr_dispatch_ptr 0
		.amdhsa_user_sgpr_queue_ptr 0
		.amdhsa_user_sgpr_kernarg_segment_ptr 1
		.amdhsa_user_sgpr_dispatch_id 0
		.amdhsa_user_sgpr_kernarg_preload_length 0
		.amdhsa_user_sgpr_kernarg_preload_offset 0
		.amdhsa_user_sgpr_private_segment_size 0
		.amdhsa_wavefront_size32 1
		.amdhsa_uses_dynamic_stack 0
		.amdhsa_enable_private_segment 0
		.amdhsa_system_sgpr_workgroup_id_x 1
		.amdhsa_system_sgpr_workgroup_id_y 1
		.amdhsa_system_sgpr_workgroup_id_z 0
		.amdhsa_system_sgpr_workgroup_info 0
		.amdhsa_system_vgpr_workitem_id 1
		.amdhsa_next_free_vgpr 10
		.amdhsa_next_free_sgpr 12
		.amdhsa_named_barrier_count 0
		.amdhsa_reserve_vcc 1
		.amdhsa_float_round_mode_32 0
		.amdhsa_float_round_mode_16_64 0
		.amdhsa_float_denorm_mode_32 3
		.amdhsa_float_denorm_mode_16_64 3
		.amdhsa_fp16_overflow 0
		.amdhsa_memory_ordered 1
		.amdhsa_forward_progress 1
		.amdhsa_inst_pref_size 5
		.amdhsa_round_robin_scheduling 0
		.amdhsa_exception_fp_ieee_invalid_op 0
		.amdhsa_exception_fp_denorm_src 0
		.amdhsa_exception_fp_ieee_div_zero 0
		.amdhsa_exception_fp_ieee_overflow 0
		.amdhsa_exception_fp_ieee_underflow 0
		.amdhsa_exception_fp_ieee_inexact 0
		.amdhsa_exception_int_div_zero 0
	.end_amdhsa_kernel
	.text
.Lfunc_end2:
	.size	_Z7kernel3PfS_iiiii, .Lfunc_end2-_Z7kernel3PfS_iiiii
                                        ; -- End function
	.set _Z7kernel3PfS_iiiii.num_vgpr, 10
	.set _Z7kernel3PfS_iiiii.num_agpr, 0
	.set _Z7kernel3PfS_iiiii.numbered_sgpr, 12
	.set _Z7kernel3PfS_iiiii.num_named_barrier, 0
	.set _Z7kernel3PfS_iiiii.private_seg_size, 0
	.set _Z7kernel3PfS_iiiii.uses_vcc, 1
	.set _Z7kernel3PfS_iiiii.uses_flat_scratch, 0
	.set _Z7kernel3PfS_iiiii.has_dyn_sized_stack, 0
	.set _Z7kernel3PfS_iiiii.has_recursion, 0
	.set _Z7kernel3PfS_iiiii.has_indirect_call, 0
	.section	.AMDGPU.csdata,"",@progbits
; Kernel info:
; codeLenInByte = 588
; TotalNumSgprs: 14
; NumVgprs: 10
; ScratchSize: 0
; MemoryBound: 0
; FloatMode: 240
; IeeeMode: 1
; LDSByteSize: 0 bytes/workgroup (compile time only)
; SGPRBlocks: 0
; VGPRBlocks: 0
; NumSGPRsForWavesPerEU: 14
; NumVGPRsForWavesPerEU: 10
; NamedBarCnt: 0
; Occupancy: 16
; WaveLimiterHint : 0
; COMPUTE_PGM_RSRC2:SCRATCH_EN: 0
; COMPUTE_PGM_RSRC2:USER_SGPR: 2
; COMPUTE_PGM_RSRC2:TRAP_HANDLER: 0
; COMPUTE_PGM_RSRC2:TGID_X_EN: 1
; COMPUTE_PGM_RSRC2:TGID_Y_EN: 1
; COMPUTE_PGM_RSRC2:TGID_Z_EN: 0
; COMPUTE_PGM_RSRC2:TIDIG_COMP_CNT: 1
	.text
	.protected	_Z7kernel4PfPKfS1_S1_S1_PiS2_S2_S2_iif ; -- Begin function _Z7kernel4PfPKfS1_S1_S1_PiS2_S2_S2_iif
	.globl	_Z7kernel4PfPKfS1_S1_S1_PiS2_S2_S2_iif
	.p2align	8
	.type	_Z7kernel4PfPKfS1_S1_S1_PiS2_S2_S2_iif,@function
_Z7kernel4PfPKfS1_S1_S1_PiS2_S2_S2_iif: ; @_Z7kernel4PfPKfS1_S1_S1_PiS2_S2_S2_iif
; %bb.0:
	s_load_b256 s[4:11], s[0:1], 0x28
	s_wait_kmcnt 0x0
	s_load_b32 s16, s[6:7], 0x0
	s_load_b96 s[12:14], s[0:1], 0x48
	s_wait_xcnt 0x0
	s_load_b64 s[0:1], s[0:1], 0x0
	s_wait_kmcnt 0x0
	s_cmp_lt_i32 s16, 3
	s_cselect_b32 s20, -1, 0
	s_cmp_gt_i32 s13, 1
	s_cselect_b32 s21, -1, 0
	s_delay_alu instid0(SALU_CYCLE_1) | instskip(NEXT) | instid1(SALU_CYCLE_1)
	s_and_b32 s2, s20, s21
	s_and_not1_b32 vcc_lo, exec_lo, s2
	s_cbranch_vccnz .LBB3_3
; %bb.1:
	s_mul_i32 s2, s12, 12
	s_add_co_i32 s3, s13, -1
	s_mov_b32 s15, 0
.LBB3_2:                                ; =>This Inner Loop Header: Depth=1
	s_wait_xcnt 0x0
	v_mov_b32_e32 v0, s15
	s_add_co_i32 s15, s2, s15
	s_add_co_i32 s3, s3, -1
	v_mov_b32_e32 v1, s15
	s_cmp_lg_u32 s3, 0
	s_clause 0x3
	global_load_b32 v2, v0, s[0:1] offset:12 scale_offset
	global_load_b32 v3, v0, s[0:1] offset:24 scale_offset
	global_load_b32 v4, v1, s[0:1] offset:4 scale_offset
	global_load_b32 v5, v0, s[0:1] offset:4 scale_offset
	s_wait_loadcnt 0x2
	s_wait_xcnt 0x1
	v_xor_b32_e32 v1, 0x80000000, v3
	s_wait_loadcnt 0x0
	v_sub_f32_e32 v3, v4, v5
	s_delay_alu instid0(VALU_DEP_1)
	v_fmac_f32_e32 v2, v1, v3
	global_store_b32 v0, v2, s[0:1] offset:12 scale_offset
	s_cbranch_scc1 .LBB3_2
.LBB3_3:
	s_load_b32 s17, s[4:5], 0x0
	s_wait_kmcnt 0x0
	s_cmp_lt_i32 s17, 3
	s_cselect_b32 s19, -1, 0
	s_cmp_gt_i32 s17, 2
	s_cselect_b32 s2, -1, 0
	s_cmp_lt_i32 s12, 1
	s_cselect_b32 s3, -1, 0
	s_delay_alu instid0(SALU_CYCLE_1) | instskip(NEXT) | instid1(SALU_CYCLE_1)
	s_or_b32 s2, s3, s2
	s_and_b32 vcc_lo, exec_lo, s2
	s_cbranch_vccnz .LBB3_6
; %bb.4:
	v_mov_b32_e32 v0, 0
	s_add_nc_u64 s[2:3], s[0:1], 12
	s_mul_i32 s15, s12, 12
	s_mov_b32 s18, s12
.LBB3_5:                                ; =>This Inner Loop Header: Depth=1
	v_mov_b32_e32 v1, s15
	s_add_co_i32 s18, s18, -1
	s_clause 0x2
	global_load_b32 v2, v0, s[2:3]
	global_load_b32 v3, v0, s[2:3] offset:12
	global_load_b32 v4, v0, s[2:3] offset:-8
	global_load_b32 v5, v1, s[0:1] offset:4 scale_offset
	s_add_co_i32 s15, s15, 12
	s_cmp_lg_u32 s18, 0
	s_wait_loadcnt 0x2
	s_wait_xcnt 0x0
	v_xor_b32_e32 v1, 0x80000000, v3
	s_wait_loadcnt 0x0
	v_sub_f32_e32 v3, v5, v4
	s_delay_alu instid0(VALU_DEP_1)
	v_fmac_f32_e32 v2, v1, v3
	global_store_b32 v0, v2, s[2:3]
	s_wait_xcnt 0x0
	s_add_nc_u64 s[2:3], s[2:3], 48
	s_cbranch_scc1 .LBB3_5
.LBB3_6:
	s_load_b32 s18, s[10:11], 0x0
	s_add_co_i32 s15, s12, -1
	s_wait_kmcnt 0x0
	s_cmp_lt_i32 s18, s15
	s_cselect_b32 s2, -1, 0
	s_xor_b32 s3, s21, -1
	s_delay_alu instid0(SALU_CYCLE_1) | instskip(NEXT) | instid1(SALU_CYCLE_1)
	s_or_b32 s2, s2, s3
	s_and_b32 vcc_lo, exec_lo, s2
	s_cbranch_vccnz .LBB3_9
; %bb.7:
	s_add_co_i32 s2, s13, -1
	s_mul_i32 s3, s12, 12
	s_mul_i32 s21, s12, 24
	s_mov_b32 s22, -12
.LBB3_8:                                ; =>This Inner Loop Header: Depth=1
	s_delay_alu instid0(SALU_CYCLE_1)
	s_add_co_i32 s23, s3, s22
	s_add_co_i32 s22, s21, s22
	s_wait_xcnt 0x0
	v_dual_mov_b32 v0, s23 :: v_dual_mov_b32 v1, s22
	s_add_co_i32 s2, s2, -1
	s_mov_b32 s22, s23
	s_cmp_lg_u32 s2, 0
	s_clause 0x3
	global_load_b32 v2, v0, s[0:1] offset:24 scale_offset
	global_load_b32 v3, v1, s[0:1] offset:4 scale_offset
	;; [unrolled: 1-line block ×4, first 2 shown]
	s_wait_loadcnt 0x3
	v_xor_b32_e32 v2, 0x80000000, v2
	s_wait_loadcnt 0x1
	s_wait_xcnt 0x2
	v_sub_f32_e32 v1, v3, v4
	s_wait_loadcnt 0x0
	s_delay_alu instid0(VALU_DEP_1)
	v_fmac_f32_e32 v5, v2, v1
	global_store_b32 v0, v5, s[0:1] offset:12 scale_offset
	s_cbranch_scc1 .LBB3_8
.LBB3_9:
	s_cmp_gt_i32 s12, 1
	s_mov_b32 s3, 1
	s_cselect_b32 s21, -1, 0
	s_delay_alu instid0(SALU_CYCLE_1) | instskip(NEXT) | instid1(SALU_CYCLE_1)
	s_and_b32 s2, s19, s21
	s_and_not1_b32 vcc_lo, exec_lo, s2
	s_cbranch_vccnz .LBB3_17
; %bb.10:
	s_add_co_i32 s2, s12, 0xf5555554
	s_delay_alu instid0(SALU_CYCLE_1)
	s_cmp_lt_u32 s2, 0xf555556b
	s_mov_b32 s2, -1
	s_cbranch_scc1 .LBB3_14
; %bb.11:
	s_wait_xcnt 0x0
	v_mov_b32_e32 v0, 0
	s_and_b32 s22, s15, -2
	s_mov_b32 s23, 2
	s_mov_b32 s24, 1
	s_mov_b32 s3, 0
	s_mov_b32 s25, s22
.LBB3_12:                               ; =>This Inner Loop Header: Depth=1
	s_mul_i32 s2, s24, 12
	s_wait_xcnt 0x9
	s_mul_i32 s26, s23, 12
	s_mov_b32 s27, s3
	s_add_co_i32 s34, s2, -8
	s_add_co_i32 s36, s2, -4
	s_wait_xcnt 0x8
	s_lshl_b64 s[28:29], s[2:3], 2
	s_add_co_i32 s2, s2, -11
	s_add_co_i32 s37, s26, -11
	s_lshl_b64 s[30:31], s[26:27], 2
	s_wait_xcnt 0x6
	v_dual_mov_b32 v13, s2 :: v_dual_mov_b32 v14, s37
	s_add_co_i32 s33, s26, -8
	s_add_co_i32 s35, s26, -4
	s_add_nc_u64 s[26:27], s[0:1], s[28:29]
	s_wait_xcnt 0x0
	v_dual_mov_b32 v1, s34 :: v_dual_mov_b32 v10, s33
	s_add_nc_u64 s[28:29], s[0:1], s[30:31]
	v_dual_mov_b32 v11, s36 :: v_dual_mov_b32 v12, s35
	s_clause 0x7
	global_load_b32 v2, v0, s[26:27] offset:4
	global_load_b32 v3, v0, s[28:29] offset:4
	global_load_b32 v4, v13, s[0:1] scale_offset
	global_load_b32 v5, v14, s[0:1] scale_offset
	;; [unrolled: 1-line block ×6, first 2 shown]
	s_add_co_i32 s25, s25, -2
	s_add_co_i32 s24, s24, 2
	s_add_co_i32 s23, s23, 2
	s_cmp_lg_u32 s25, 0
	s_wait_loadcnt 0x4
	v_pk_add_f32 v[2:3], v[2:3], v[4:5] neg_lo:[0,1] neg_hi:[0,1]
	s_wait_loadcnt 0x0
	s_delay_alu instid0(VALU_DEP_1)
	v_pk_fma_f32 v[2:3], v[8:9], v[2:3], v[6:7] neg_lo:[1,0,0] neg_hi:[1,0,0]
	s_clause 0x1
	global_store_b32 v1, v2, s[0:1] scale_offset
	global_store_b32 v10, v3, s[0:1] scale_offset
	s_cbranch_scc1 .LBB3_12
; %bb.13:
	s_or_b32 s3, s15, 1
	s_cmp_lg_u32 s15, s22
	s_cselect_b32 s2, -1, 0
.LBB3_14:
	s_delay_alu instid0(SALU_CYCLE_1)
	s_and_b32 vcc_lo, exec_lo, s2
	s_cbranch_vccz .LBB3_17
; %bb.15:
	s_sub_co_i32 s2, s12, s3
	s_mul_i32 s3, s3, 12
.LBB3_16:                               ; =>This Inner Loop Header: Depth=1
	s_delay_alu instid0(SALU_CYCLE_1) | instskip(SKIP_4) | instid1(SALU_CYCLE_1)
	s_add_co_i32 s24, s3, -11
	s_add_co_i32 s23, s3, -4
	s_wait_xcnt 0x0
	v_dual_mov_b32 v0, s3 :: v_dual_mov_b32 v1, s24
	s_add_co_i32 s22, s3, -8
	v_dual_mov_b32 v2, s23 :: v_dual_mov_b32 v3, s22
	s_clause 0x3
	global_load_b32 v4, v0, s[0:1] offset:4 scale_offset
	global_load_b32 v5, v1, s[0:1] scale_offset
	global_load_b32 v6, v2, s[0:1] scale_offset
	;; [unrolled: 1-line block ×3, first 2 shown]
	s_add_co_i32 s2, s2, -1
	s_add_co_i32 s3, s3, 12
	s_cmp_lg_u32 s2, 0
	s_wait_loadcnt 0x2
	s_wait_xcnt 0x3
	v_sub_f32_e32 v0, v4, v5
	s_wait_loadcnt 0x1
	s_wait_xcnt 0x2
	v_xor_b32_e32 v1, 0x80000000, v6
	s_wait_loadcnt 0x0
	s_delay_alu instid0(VALU_DEP_1)
	v_fmac_f32_e32 v7, v1, v0
	global_store_b32 v3, v7, s[0:1] scale_offset
	s_cbranch_scc1 .LBB3_16
.LBB3_17:
	s_cmp_lt_i32 s13, 1
	s_cselect_b32 s2, -1, 0
	s_xor_b32 s3, s20, -1
	s_delay_alu instid0(SALU_CYCLE_1) | instskip(NEXT) | instid1(SALU_CYCLE_1)
	s_or_b32 s2, s2, s3
	s_and_b32 vcc_lo, exec_lo, s2
	s_cbranch_vccnz .LBB3_20
; %bb.18:
	s_mul_i32 s2, s12, 12
	s_mov_b32 s3, 0
	s_mov_b32 s20, s13
.LBB3_19:                               ; =>This Inner Loop Header: Depth=1
	s_wait_xcnt 0x0
	v_mov_b32_e32 v0, s3
	s_add_co_i32 s20, s20, -1
	s_add_co_i32 s3, s3, s2
	s_cmp_lg_u32 s20, 0
	s_clause 0x3
	global_load_b32 v1, v0, s[0:1] offset:32 scale_offset
	global_load_b32 v2, v0, s[0:1] offset:52 scale_offset
	global_load_b32 v3, v0, s[0:1] offset:4 scale_offset
	global_load_b32 v4, v0, s[0:1] offset:16 scale_offset
	s_wait_loadcnt 0x3
	v_xor_b32_e32 v1, 0x80000000, v1
	s_wait_loadcnt 0x1
	v_sub_f32_e32 v2, v2, v3
	s_wait_loadcnt 0x0
	s_delay_alu instid0(VALU_DEP_1)
	v_fmac_f32_e32 v4, v1, v2
	global_store_b32 v0, v4, s[0:1] offset:16 scale_offset
	s_cbranch_scc1 .LBB3_19
.LBB3_20:
	s_load_b32 s2, s[8:9], 0x0
	s_add_co_i32 s3, s13, -1
	s_wait_kmcnt 0x0
	s_cmp_lt_i32 s2, s3
	s_cselect_b32 s13, -1, 0
	s_xor_b32 s20, s21, -1
	s_delay_alu instid0(SALU_CYCLE_1) | instskip(NEXT) | instid1(SALU_CYCLE_1)
	s_or_b32 s13, s13, s20
	s_and_b32 vcc_lo, exec_lo, s13
	s_cbranch_vccnz .LBB3_23
; %bb.21:
	s_mul_i32 s13, s12, s3
	s_mov_b32 s20, s15
	s_mul_i32 s13, s13, 12
	s_delay_alu instid0(SALU_CYCLE_1)
	s_add_co_i32 s13, s13, 12
.LBB3_22:                               ; =>This Inner Loop Header: Depth=1
	s_delay_alu instid0(SALU_CYCLE_1)
	s_add_co_i32 s23, s13, -11
	s_add_co_i32 s22, s13, -4
	v_dual_mov_b32 v0, s13 :: v_dual_mov_b32 v1, s23
	s_add_co_i32 s21, s13, -8
	s_wait_xcnt 0x0
	v_dual_mov_b32 v2, s22 :: v_dual_mov_b32 v3, s21
	s_clause 0x3
	global_load_b32 v4, v0, s[0:1] offset:4 scale_offset
	global_load_b32 v5, v1, s[0:1] scale_offset
	global_load_b32 v6, v2, s[0:1] scale_offset
	;; [unrolled: 1-line block ×3, first 2 shown]
	s_add_co_i32 s20, s20, -1
	s_add_co_i32 s13, s13, 12
	s_cmp_lg_u32 s20, 0
	s_wait_loadcnt 0x2
	s_wait_xcnt 0x3
	v_sub_f32_e32 v0, v4, v5
	s_wait_loadcnt 0x1
	s_wait_xcnt 0x2
	v_xor_b32_e32 v1, 0x80000000, v6
	s_wait_loadcnt 0x0
	s_delay_alu instid0(VALU_DEP_1)
	v_fmac_f32_e32 v7, v1, v0
	global_store_b32 v3, v7, s[0:1] scale_offset
	s_cbranch_scc1 .LBB3_22
.LBB3_23:
	s_cmp_gt_i32 s16, s18
	s_cselect_b32 s13, -1, 0
	s_delay_alu instid0(SALU_CYCLE_1) | instskip(NEXT) | instid1(SALU_CYCLE_1)
	s_or_b32 s13, s19, s13
	s_and_b32 vcc_lo, exec_lo, s13
	s_cbranch_vccnz .LBB3_28
; %bb.24:
	s_add_co_i32 s13, s17, 1
	s_mul_i32 s19, s16, 12
	s_mul_i32 s13, s12, s13
	s_delay_alu instid0(SALU_CYCLE_1) | instskip(NEXT) | instid1(SALU_CYCLE_1)
	s_mul_i32 s13, s13, 12
	s_add_co_i32 s19, s13, s19
	s_add_co_i32 s13, s16, -1
	s_add_co_i32 s19, s19, -11
	s_branch .LBB3_26
.LBB3_25:                               ;   in Loop: Header=BB3_26 Depth=1
	s_and_not1_b32 vcc_lo, exec_lo, s21
	s_cbranch_vccz .LBB3_29
.LBB3_26:                               ; =>This Inner Loop Header: Depth=1
	v_mov_b32_e32 v0, s19
	s_mov_b32 s20, -1
	s_mov_b32 s21, -1
	global_load_b32 v0, v0, s[0:1] scale_offset
	s_wait_loadcnt 0x0
	v_and_b32_e32 v0, 0x7fffffff, v0
	s_delay_alu instid0(VALU_DEP_1)
	v_cmp_nlt_f32_e32 vcc_lo, s14, v0
	s_cbranch_vccz .LBB3_25
; %bb.27:                               ;   in Loop: Header=BB3_26 Depth=1
	s_add_co_i32 s13, s13, 1
	s_add_co_i32 s19, s19, 12
	s_cmp_ge_i32 s13, s18
	s_mov_b32 s20, 0
	s_cselect_b32 s21, -1, 0
	s_branch .LBB3_25
.LBB3_28:
	v_mov_b32_e32 v0, s16
	s_branch .LBB3_31
.LBB3_29:
	v_mov_b32_e32 v0, s16
	s_and_b32 vcc_lo, exec_lo, s20
	s_cbranch_vccz .LBB3_31
; %bb.30:
	s_add_co_i32 s2, s17, -1
	s_delay_alu instid0(SALU_CYCLE_1)
	v_dual_mov_b32 v1, 0 :: v_dual_mov_b32 v0, s2
	s_clause 0x2
	global_store_b32 v1, v0, s[4:5]
	global_load_b32 v2, v1, s[8:9]
	global_load_b32 v0, v1, s[6:7]
	s_wait_loadcnt 0x1
	v_readfirstlane_b32 s2, v2
.LBB3_31:
	s_delay_alu instid0(VALU_DEP_1)
	s_cmp_ge_i32 s2, s3
	s_cbranch_scc1 .LBB3_39
; %bb.32:
	s_wait_xcnt 0x0
	v_mov_b32_e32 v1, 0
	global_load_b32 v1, v1, s[10:11]
	s_wait_loadcnt 0x0
	v_cmp_gt_i32_e32 vcc_lo, v0, v1
	s_cbranch_vccnz .LBB3_39
; %bb.33:
	v_mul_lo_u32 v2, v0, 12
	s_add_co_i32 s3, s2, -3
	s_delay_alu instid0(SALU_CYCLE_1) | instskip(NEXT) | instid1(SALU_CYCLE_1)
	s_mul_i32 s3, s12, s3
	s_mul_i32 s3, s3, 12
	s_delay_alu instid0(VALU_DEP_1) | instid1(SALU_CYCLE_1)
	v_dual_add_nc_u32 v3, s3, v2 :: v_dual_add_nc_u32 v2, -1, v0
	s_delay_alu instid0(VALU_DEP_1)
	v_add_nc_u32_e32 v3, -11, v3
	s_branch .LBB3_35
.LBB3_34:                               ;   in Loop: Header=BB3_35 Depth=1
	s_wait_xcnt 0x0
	v_dual_add_nc_u32 v2, 1, v2 :: v_dual_add_nc_u32 v3, 12, v3
	s_mov_b32 s3, 0
	s_delay_alu instid0(VALU_DEP_1)
	v_cmp_ge_i32_e64 s13, v2, v1
	s_and_not1_b32 vcc_lo, exec_lo, s13
	s_cbranch_vccz .LBB3_37
.LBB3_35:                               ; =>This Inner Loop Header: Depth=1
	global_load_b32 v4, v3, s[0:1] scale_offset
	s_wait_loadcnt 0x0
	v_and_b32_e32 v4, 0x7fffffff, v4
	s_delay_alu instid0(VALU_DEP_1)
	v_cmp_nlt_f32_e32 vcc_lo, s14, v4
	s_cbranch_vccnz .LBB3_34
; %bb.36:
	s_mov_b32 s3, -1
                                        ; implicit-def: $vgpr2
                                        ; implicit-def: $vgpr3
.LBB3_37:
	s_delay_alu instid0(SALU_CYCLE_1)
	s_and_b32 vcc_lo, exec_lo, s3
	s_cbranch_vccz .LBB3_39
; %bb.38:
	s_add_co_i32 s2, s2, 1
	s_wait_xcnt 0x1
	v_dual_mov_b32 v0, 0 :: v_dual_mov_b32 v1, s2
	s_clause 0x1
	global_store_b32 v0, v1, s[8:9]
	global_load_b32 v0, v0, s[6:7]
.LBB3_39:
	s_wait_loadcnt 0x0
	v_cmp_gt_i32_e32 vcc_lo, 3, v0
	s_cbranch_vccnz .LBB3_47
; %bb.40:
	s_wait_xcnt 0x0
	v_mov_b32_e32 v1, 0
	global_load_b32 v1, v1, s[4:5]
	s_wait_loadcnt 0x0
	v_cmp_lt_i32_e32 vcc_lo, s2, v1
	s_cbranch_vccnz .LBB3_47
; %bb.41:
	v_mul_lo_u32 v3, v0, 12
	s_wait_xcnt 0x0
	v_add_nc_u32_e32 v1, -1, v1
	s_mul_i32 s3, s12, 12
	s_delay_alu instid0(VALU_DEP_1) | instid1(SALU_CYCLE_1)
	v_mul_lo_u32 v2, s3, v1
	s_delay_alu instid0(VALU_DEP_1)
	v_add_nc_u32_e32 v2, v2, v3
	s_branch .LBB3_43
.LBB3_42:                               ;   in Loop: Header=BB3_43 Depth=1
	s_wait_xcnt 0x0
	v_dual_add_nc_u32 v1, 1, v1 :: v_dual_add_nc_u32 v2, s3, v2
	s_mov_b32 s13, 0
	s_delay_alu instid0(VALU_DEP_1)
	v_cmp_le_i32_e64 s16, s2, v1
	s_and_not1_b32 vcc_lo, exec_lo, s16
	s_cbranch_vccz .LBB3_45
.LBB3_43:                               ; =>This Inner Loop Header: Depth=1
	global_load_b32 v3, v2, s[0:1] offset:52 scale_offset
	s_wait_loadcnt 0x0
	v_and_b32_e32 v3, 0x7fffffff, v3
	s_delay_alu instid0(VALU_DEP_1)
	v_cmp_nlt_f32_e32 vcc_lo, s14, v3
	s_cbranch_vccnz .LBB3_42
; %bb.44:
	s_mov_b32 s13, -1
                                        ; implicit-def: $vgpr1
                                        ; implicit-def: $vgpr2
.LBB3_45:
	s_delay_alu instid0(SALU_CYCLE_1)
	s_and_b32 vcc_lo, exec_lo, s13
	s_cbranch_vccz .LBB3_47
; %bb.46:
	v_dual_mov_b32 v1, 0 :: v_dual_add_nc_u32 v0, -1, v0
	global_store_b32 v1, v0, s[6:7]
.LBB3_47:
	s_wait_xcnt 0x0
	v_mov_b32_e32 v2, 0
	global_load_b32 v0, v2, s[10:11]
	s_wait_loadcnt 0x0
	v_cmp_le_i32_e32 vcc_lo, s15, v0
	s_cbranch_vccnz .LBB3_55
; %bb.48:
	s_clause 0x1
	global_load_b32 v3, v2, s[4:5]
	global_load_b32 v1, v2, s[8:9]
	s_wait_loadcnt 0x0
	v_cmp_gt_i32_e32 vcc_lo, v3, v1
	s_cbranch_vccnz .LBB3_55
; %bb.49:
	v_mul_lo_u32 v4, v0, 12
	s_wait_xcnt 0x0
	v_add_nc_u32_e32 v2, -1, v3
	s_mul_i32 s2, s12, 12
	s_delay_alu instid0(VALU_DEP_1) | instid1(SALU_CYCLE_1)
	v_mul_lo_u32 v3, s2, v2
	s_delay_alu instid0(VALU_DEP_1) | instskip(NEXT) | instid1(VALU_DEP_1)
	v_add_nc_u32_e32 v3, v3, v4
	v_subrev_nc_u32_e32 v3, 35, v3
	s_branch .LBB3_51
.LBB3_50:                               ;   in Loop: Header=BB3_51 Depth=1
	s_wait_xcnt 0x0
	v_dual_add_nc_u32 v2, 1, v2 :: v_dual_add_nc_u32 v3, s2, v3
	s_mov_b32 s3, 0
	s_delay_alu instid0(VALU_DEP_1)
	v_cmp_ge_i32_e64 s4, v2, v1
	s_and_not1_b32 vcc_lo, exec_lo, s4
	s_cbranch_vccz .LBB3_53
.LBB3_51:                               ; =>This Inner Loop Header: Depth=1
	global_load_b32 v4, v3, s[0:1] scale_offset
	s_wait_loadcnt 0x0
	v_and_b32_e32 v4, 0x7fffffff, v4
	s_delay_alu instid0(VALU_DEP_1)
	v_cmp_nlt_f32_e32 vcc_lo, s14, v4
	s_cbranch_vccnz .LBB3_50
; %bb.52:
	s_mov_b32 s3, -1
                                        ; implicit-def: $vgpr2
                                        ; implicit-def: $vgpr3
.LBB3_53:
	s_delay_alu instid0(SALU_CYCLE_1)
	s_and_b32 vcc_lo, exec_lo, s3
	s_cbranch_vccz .LBB3_55
; %bb.54:
	v_dual_mov_b32 v1, 0 :: v_dual_add_nc_u32 v0, 1, v0
	global_store_b32 v1, v0, s[10:11]
.LBB3_55:
	s_endpgm
	.section	.rodata,"a",@progbits
	.p2align	6, 0x0
	.amdhsa_kernel _Z7kernel4PfPKfS1_S1_S1_PiS2_S2_S2_iif
		.amdhsa_group_segment_fixed_size 0
		.amdhsa_private_segment_fixed_size 0
		.amdhsa_kernarg_size 84
		.amdhsa_user_sgpr_count 2
		.amdhsa_user_sgpr_dispatch_ptr 0
		.amdhsa_user_sgpr_queue_ptr 0
		.amdhsa_user_sgpr_kernarg_segment_ptr 1
		.amdhsa_user_sgpr_dispatch_id 0
		.amdhsa_user_sgpr_kernarg_preload_length 0
		.amdhsa_user_sgpr_kernarg_preload_offset 0
		.amdhsa_user_sgpr_private_segment_size 0
		.amdhsa_wavefront_size32 1
		.amdhsa_uses_dynamic_stack 0
		.amdhsa_enable_private_segment 0
		.amdhsa_system_sgpr_workgroup_id_x 1
		.amdhsa_system_sgpr_workgroup_id_y 0
		.amdhsa_system_sgpr_workgroup_id_z 0
		.amdhsa_system_sgpr_workgroup_info 0
		.amdhsa_system_vgpr_workitem_id 0
		.amdhsa_next_free_vgpr 15
		.amdhsa_next_free_sgpr 38
		.amdhsa_named_barrier_count 0
		.amdhsa_reserve_vcc 1
		.amdhsa_float_round_mode_32 0
		.amdhsa_float_round_mode_16_64 0
		.amdhsa_float_denorm_mode_32 3
		.amdhsa_float_denorm_mode_16_64 3
		.amdhsa_fp16_overflow 0
		.amdhsa_memory_ordered 1
		.amdhsa_forward_progress 1
		.amdhsa_inst_pref_size 19
		.amdhsa_round_robin_scheduling 0
		.amdhsa_exception_fp_ieee_invalid_op 0
		.amdhsa_exception_fp_denorm_src 0
		.amdhsa_exception_fp_ieee_div_zero 0
		.amdhsa_exception_fp_ieee_overflow 0
		.amdhsa_exception_fp_ieee_underflow 0
		.amdhsa_exception_fp_ieee_inexact 0
		.amdhsa_exception_int_div_zero 0
	.end_amdhsa_kernel
	.text
.Lfunc_end3:
	.size	_Z7kernel4PfPKfS1_S1_S1_PiS2_S2_S2_iif, .Lfunc_end3-_Z7kernel4PfPKfS1_S1_S1_PiS2_S2_S2_iif
                                        ; -- End function
	.set _Z7kernel4PfPKfS1_S1_S1_PiS2_S2_S2_iif.num_vgpr, 15
	.set _Z7kernel4PfPKfS1_S1_S1_PiS2_S2_S2_iif.num_agpr, 0
	.set _Z7kernel4PfPKfS1_S1_S1_PiS2_S2_S2_iif.numbered_sgpr, 38
	.set _Z7kernel4PfPKfS1_S1_S1_PiS2_S2_S2_iif.num_named_barrier, 0
	.set _Z7kernel4PfPKfS1_S1_S1_PiS2_S2_S2_iif.private_seg_size, 0
	.set _Z7kernel4PfPKfS1_S1_S1_PiS2_S2_S2_iif.uses_vcc, 1
	.set _Z7kernel4PfPKfS1_S1_S1_PiS2_S2_S2_iif.uses_flat_scratch, 0
	.set _Z7kernel4PfPKfS1_S1_S1_PiS2_S2_S2_iif.has_dyn_sized_stack, 0
	.set _Z7kernel4PfPKfS1_S1_S1_PiS2_S2_S2_iif.has_recursion, 0
	.set _Z7kernel4PfPKfS1_S1_S1_PiS2_S2_S2_iif.has_indirect_call, 0
	.section	.AMDGPU.csdata,"",@progbits
; Kernel info:
; codeLenInByte = 2416
; TotalNumSgprs: 40
; NumVgprs: 15
; ScratchSize: 0
; MemoryBound: 0
; FloatMode: 240
; IeeeMode: 1
; LDSByteSize: 0 bytes/workgroup (compile time only)
; SGPRBlocks: 0
; VGPRBlocks: 0
; NumSGPRsForWavesPerEU: 40
; NumVGPRsForWavesPerEU: 15
; NamedBarCnt: 0
; Occupancy: 16
; WaveLimiterHint : 0
; COMPUTE_PGM_RSRC2:SCRATCH_EN: 0
; COMPUTE_PGM_RSRC2:USER_SGPR: 2
; COMPUTE_PGM_RSRC2:TRAP_HANDLER: 0
; COMPUTE_PGM_RSRC2:TGID_X_EN: 1
; COMPUTE_PGM_RSRC2:TGID_Y_EN: 0
; COMPUTE_PGM_RSRC2:TGID_Z_EN: 0
; COMPUTE_PGM_RSRC2:TIDIG_COMP_CNT: 0
	.text
	.p2alignl 7, 3214868480
	.fill 96, 4, 3214868480
	.section	.AMDGPU.gpr_maximums,"",@progbits
	.set amdgpu.max_num_vgpr, 0
	.set amdgpu.max_num_agpr, 0
	.set amdgpu.max_num_sgpr, 0
	.text
	.type	__hip_cuid_7c82cd4da8e94c87,@object ; @__hip_cuid_7c82cd4da8e94c87
	.section	.bss,"aw",@nobits
	.globl	__hip_cuid_7c82cd4da8e94c87
__hip_cuid_7c82cd4da8e94c87:
	.byte	0                               ; 0x0
	.size	__hip_cuid_7c82cd4da8e94c87, 1

	.ident	"AMD clang version 22.0.0git (https://github.com/RadeonOpenCompute/llvm-project roc-7.2.4 26084 f58b06dce1f9c15707c5f808fd002e18c2accf7e)"
	.section	".note.GNU-stack","",@progbits
	.addrsig
	.addrsig_sym __hip_cuid_7c82cd4da8e94c87
	.amdgpu_metadata
---
amdhsa.kernels:
  - .args:
      - .address_space:  global
        .offset:         0
        .size:           8
        .value_kind:     global_buffer
      - .address_space:  global
        .offset:         8
        .size:           8
        .value_kind:     global_buffer
      - .offset:         16
        .size:           4
        .value_kind:     by_value
      - .offset:         20
        .size:           4
        .value_kind:     by_value
      - .offset:         24
        .size:           4
        .value_kind:     by_value
      - .offset:         28
        .size:           4
        .value_kind:     by_value
      - .offset:         32
        .size:           4
        .value_kind:     by_value
      - .offset:         36
        .size:           4
        .value_kind:     by_value
      - .offset:         40
        .size:           4
        .value_kind:     by_value
      - .offset:         44
        .size:           4
        .value_kind:     by_value
      - .offset:         48
        .size:           4
        .value_kind:     hidden_block_count_x
      - .offset:         52
        .size:           4
        .value_kind:     hidden_block_count_y
      - .offset:         56
        .size:           4
        .value_kind:     hidden_block_count_z
      - .offset:         60
        .size:           2
        .value_kind:     hidden_group_size_x
      - .offset:         62
        .size:           2
        .value_kind:     hidden_group_size_y
      - .offset:         64
        .size:           2
        .value_kind:     hidden_group_size_z
      - .offset:         66
        .size:           2
        .value_kind:     hidden_remainder_x
      - .offset:         68
        .size:           2
        .value_kind:     hidden_remainder_y
      - .offset:         70
        .size:           2
        .value_kind:     hidden_remainder_z
      - .offset:         88
        .size:           8
        .value_kind:     hidden_global_offset_x
      - .offset:         96
        .size:           8
        .value_kind:     hidden_global_offset_y
      - .offset:         104
        .size:           8
        .value_kind:     hidden_global_offset_z
      - .offset:         112
        .size:           2
        .value_kind:     hidden_grid_dims
    .group_segment_fixed_size: 0
    .kernarg_segment_align: 8
    .kernarg_segment_size: 304
    .language:       OpenCL C
    .language_version:
      - 2
      - 0
    .max_flat_workgroup_size: 1024
    .name:           _Z6kernelPfS_iiiiiffi
    .private_segment_fixed_size: 0
    .sgpr_count:     18
    .sgpr_spill_count: 0
    .symbol:         _Z6kernelPfS_iiiiiffi.kd
    .uniform_work_group_size: 1
    .uses_dynamic_stack: false
    .vgpr_count:     13
    .vgpr_spill_count: 0
    .wavefront_size: 32
  - .args:
      - .address_space:  global
        .offset:         0
        .size:           8
        .value_kind:     global_buffer
      - .address_space:  global
        .offset:         8
        .size:           8
        .value_kind:     global_buffer
      - .address_space:  global
        .offset:         16
        .size:           8
        .value_kind:     global_buffer
      - .address_space:  global
        .offset:         24
        .size:           8
        .value_kind:     global_buffer
      - .address_space:  global
        .offset:         32
        .size:           8
        .value_kind:     global_buffer
      - .offset:         40
        .size:           4
        .value_kind:     by_value
      - .offset:         44
        .size:           4
        .value_kind:     by_value
      - .offset:         48
        .size:           4
        .value_kind:     by_value
      - .offset:         52
        .size:           4
        .value_kind:     by_value
      - .offset:         56
        .size:           4
        .value_kind:     by_value
      - .offset:         60
        .size:           4
        .value_kind:     by_value
    .group_segment_fixed_size: 0
    .kernarg_segment_align: 8
    .kernarg_segment_size: 64
    .language:       OpenCL C
    .language_version:
      - 2
      - 0
    .max_flat_workgroup_size: 1024
    .name:           _Z7kernel2PfPKfS1_S1_S1_iiiiii
    .private_segment_fixed_size: 0
    .sgpr_count:     47
    .sgpr_spill_count: 0
    .symbol:         _Z7kernel2PfPKfS1_S1_S1_iiiiii.kd
    .uniform_work_group_size: 1
    .uses_dynamic_stack: false
    .vgpr_count:     34
    .vgpr_spill_count: 0
    .wavefront_size: 32
  - .args:
      - .address_space:  global
        .offset:         0
        .size:           8
        .value_kind:     global_buffer
      - .address_space:  global
        .offset:         8
        .size:           8
        .value_kind:     global_buffer
      - .offset:         16
        .size:           4
        .value_kind:     by_value
      - .offset:         20
        .size:           4
        .value_kind:     by_value
      - .offset:         24
        .size:           4
        .value_kind:     by_value
      - .offset:         28
        .size:           4
        .value_kind:     by_value
      - .offset:         32
        .size:           4
        .value_kind:     by_value
      - .offset:         40
        .size:           4
        .value_kind:     hidden_block_count_x
      - .offset:         44
        .size:           4
        .value_kind:     hidden_block_count_y
      - .offset:         48
        .size:           4
        .value_kind:     hidden_block_count_z
      - .offset:         52
        .size:           2
        .value_kind:     hidden_group_size_x
      - .offset:         54
        .size:           2
        .value_kind:     hidden_group_size_y
      - .offset:         56
        .size:           2
        .value_kind:     hidden_group_size_z
      - .offset:         58
        .size:           2
        .value_kind:     hidden_remainder_x
      - .offset:         60
        .size:           2
        .value_kind:     hidden_remainder_y
      - .offset:         62
        .size:           2
        .value_kind:     hidden_remainder_z
      - .offset:         80
        .size:           8
        .value_kind:     hidden_global_offset_x
      - .offset:         88
        .size:           8
        .value_kind:     hidden_global_offset_y
      - .offset:         96
        .size:           8
        .value_kind:     hidden_global_offset_z
      - .offset:         104
        .size:           2
        .value_kind:     hidden_grid_dims
    .group_segment_fixed_size: 0
    .kernarg_segment_align: 8
    .kernarg_segment_size: 296
    .language:       OpenCL C
    .language_version:
      - 2
      - 0
    .max_flat_workgroup_size: 1024
    .name:           _Z7kernel3PfS_iiiii
    .private_segment_fixed_size: 0
    .sgpr_count:     14
    .sgpr_spill_count: 0
    .symbol:         _Z7kernel3PfS_iiiii.kd
    .uniform_work_group_size: 1
    .uses_dynamic_stack: false
    .vgpr_count:     10
    .vgpr_spill_count: 0
    .wavefront_size: 32
  - .args:
      - .address_space:  global
        .offset:         0
        .size:           8
        .value_kind:     global_buffer
      - .address_space:  global
        .offset:         8
        .size:           8
        .value_kind:     global_buffer
      - .address_space:  global
        .offset:         16
        .size:           8
        .value_kind:     global_buffer
      - .address_space:  global
        .offset:         24
        .size:           8
        .value_kind:     global_buffer
      - .address_space:  global
        .offset:         32
        .size:           8
        .value_kind:     global_buffer
      - .address_space:  global
        .offset:         40
        .size:           8
        .value_kind:     global_buffer
      - .address_space:  global
        .offset:         48
        .size:           8
        .value_kind:     global_buffer
      - .address_space:  global
        .offset:         56
        .size:           8
        .value_kind:     global_buffer
      - .address_space:  global
        .offset:         64
        .size:           8
        .value_kind:     global_buffer
      - .offset:         72
        .size:           4
        .value_kind:     by_value
      - .offset:         76
        .size:           4
        .value_kind:     by_value
      - .offset:         80
        .size:           4
        .value_kind:     by_value
    .group_segment_fixed_size: 0
    .kernarg_segment_align: 8
    .kernarg_segment_size: 84
    .language:       OpenCL C
    .language_version:
      - 2
      - 0
    .max_flat_workgroup_size: 1024
    .name:           _Z7kernel4PfPKfS1_S1_S1_PiS2_S2_S2_iif
    .private_segment_fixed_size: 0
    .sgpr_count:     40
    .sgpr_spill_count: 0
    .symbol:         _Z7kernel4PfPKfS1_S1_S1_PiS2_S2_S2_iif.kd
    .uniform_work_group_size: 1
    .uses_dynamic_stack: false
    .vgpr_count:     15
    .vgpr_spill_count: 0
    .wavefront_size: 32
amdhsa.target:   amdgcn-amd-amdhsa--gfx1250
amdhsa.version:
  - 1
  - 2
...

	.end_amdgpu_metadata
